;; amdgpu-corpus repo=ROCm/rocFFT kind=compiled arch=gfx1030 opt=O3
	.text
	.amdgcn_target "amdgcn-amd-amdhsa--gfx1030"
	.amdhsa_code_object_version 6
	.protected	fft_rtc_back_len1156_factors_17_2_17_2_wgs_204_tpt_68_halfLds_dp_op_CI_CI_unitstride_sbrr_R2C_dirReg ; -- Begin function fft_rtc_back_len1156_factors_17_2_17_2_wgs_204_tpt_68_halfLds_dp_op_CI_CI_unitstride_sbrr_R2C_dirReg
	.globl	fft_rtc_back_len1156_factors_17_2_17_2_wgs_204_tpt_68_halfLds_dp_op_CI_CI_unitstride_sbrr_R2C_dirReg
	.p2align	8
	.type	fft_rtc_back_len1156_factors_17_2_17_2_wgs_204_tpt_68_halfLds_dp_op_CI_CI_unitstride_sbrr_R2C_dirReg,@function
fft_rtc_back_len1156_factors_17_2_17_2_wgs_204_tpt_68_halfLds_dp_op_CI_CI_unitstride_sbrr_R2C_dirReg: ; @fft_rtc_back_len1156_factors_17_2_17_2_wgs_204_tpt_68_halfLds_dp_op_CI_CI_unitstride_sbrr_R2C_dirReg
; %bb.0:
	s_load_dwordx4 s[12:15], s[4:5], 0x0
	v_mul_u32_u24_e32 v1, 0x3c4, v0
	s_clause 0x1
	s_load_dwordx4 s[8:11], s[4:5], 0x58
	s_load_dwordx4 s[16:19], s[4:5], 0x18
	v_mov_b32_e32 v5, 0
	v_lshrrev_b32_e32 v3, 16, v1
	v_mov_b32_e32 v1, 0
	v_mov_b32_e32 v2, 0
	v_mad_u64_u32 v[3:4], null, s6, 3, v[3:4]
	v_mov_b32_e32 v4, v5
	v_mov_b32_e32 v73, v2
	;; [unrolled: 1-line block ×5, first 2 shown]
	s_waitcnt lgkmcnt(0)
	v_cmp_lt_u64_e64 s0, s[14:15], 2
	s_and_b32 vcc_lo, exec_lo, s0
	s_cbranch_vccnz .LBB0_8
; %bb.1:
	s_load_dwordx2 s[0:1], s[4:5], 0x10
	v_mov_b32_e32 v1, 0
	v_mov_b32_e32 v2, 0
	s_add_u32 s2, s18, 8
	v_mov_b32_e32 v8, v4
	s_addc_u32 s3, s19, 0
	v_mov_b32_e32 v7, v3
	v_mov_b32_e32 v73, v2
	s_add_u32 s6, s16, 8
	v_mov_b32_e32 v72, v1
	s_addc_u32 s7, s17, 0
	s_mov_b64 s[22:23], 1
	s_waitcnt lgkmcnt(0)
	s_add_u32 s20, s0, 8
	s_addc_u32 s21, s1, 0
.LBB0_2:                                ; =>This Inner Loop Header: Depth=1
	s_load_dwordx2 s[24:25], s[20:21], 0x0
                                        ; implicit-def: $vgpr76_vgpr77
	s_mov_b32 s0, exec_lo
	s_waitcnt lgkmcnt(0)
	v_or_b32_e32 v6, s25, v8
	v_cmpx_ne_u64_e32 0, v[5:6]
	s_xor_b32 s1, exec_lo, s0
	s_cbranch_execz .LBB0_4
; %bb.3:                                ;   in Loop: Header=BB0_2 Depth=1
	v_cvt_f32_u32_e32 v4, s24
	v_cvt_f32_u32_e32 v6, s25
	s_sub_u32 s0, 0, s24
	s_subb_u32 s26, 0, s25
	v_fmac_f32_e32 v4, 0x4f800000, v6
	v_rcp_f32_e32 v4, v4
	v_mul_f32_e32 v4, 0x5f7ffffc, v4
	v_mul_f32_e32 v6, 0x2f800000, v4
	v_trunc_f32_e32 v6, v6
	v_fmac_f32_e32 v4, 0xcf800000, v6
	v_cvt_u32_f32_e32 v6, v6
	v_cvt_u32_f32_e32 v4, v4
	v_mul_lo_u32 v9, s0, v6
	v_mul_hi_u32 v10, s0, v4
	v_mul_lo_u32 v11, s26, v4
	v_add_nc_u32_e32 v9, v10, v9
	v_mul_lo_u32 v10, s0, v4
	v_add_nc_u32_e32 v9, v9, v11
	v_mul_hi_u32 v11, v4, v10
	v_mul_lo_u32 v12, v4, v9
	v_mul_hi_u32 v13, v4, v9
	v_mul_hi_u32 v14, v6, v10
	v_mul_lo_u32 v10, v6, v10
	v_mul_hi_u32 v15, v6, v9
	v_mul_lo_u32 v9, v6, v9
	v_add_co_u32 v11, vcc_lo, v11, v12
	v_add_co_ci_u32_e32 v12, vcc_lo, 0, v13, vcc_lo
	v_add_co_u32 v10, vcc_lo, v11, v10
	v_add_co_ci_u32_e32 v10, vcc_lo, v12, v14, vcc_lo
	v_add_co_ci_u32_e32 v11, vcc_lo, 0, v15, vcc_lo
	v_add_co_u32 v9, vcc_lo, v10, v9
	v_add_co_ci_u32_e32 v10, vcc_lo, 0, v11, vcc_lo
	v_add_co_u32 v4, vcc_lo, v4, v9
	v_add_co_ci_u32_e32 v6, vcc_lo, v6, v10, vcc_lo
	v_mul_hi_u32 v9, s0, v4
	v_mul_lo_u32 v11, s26, v4
	v_mul_lo_u32 v10, s0, v6
	v_add_nc_u32_e32 v9, v9, v10
	v_mul_lo_u32 v10, s0, v4
	v_add_nc_u32_e32 v9, v9, v11
	v_mul_hi_u32 v11, v4, v10
	v_mul_lo_u32 v12, v4, v9
	v_mul_hi_u32 v13, v4, v9
	v_mul_hi_u32 v14, v6, v10
	v_mul_lo_u32 v10, v6, v10
	v_mul_hi_u32 v15, v6, v9
	v_mul_lo_u32 v9, v6, v9
	v_add_co_u32 v11, vcc_lo, v11, v12
	v_add_co_ci_u32_e32 v12, vcc_lo, 0, v13, vcc_lo
	v_add_co_u32 v10, vcc_lo, v11, v10
	v_add_co_ci_u32_e32 v10, vcc_lo, v12, v14, vcc_lo
	v_add_co_ci_u32_e32 v11, vcc_lo, 0, v15, vcc_lo
	v_add_co_u32 v9, vcc_lo, v10, v9
	v_add_co_ci_u32_e32 v10, vcc_lo, 0, v11, vcc_lo
	v_add_co_u32 v4, vcc_lo, v4, v9
	v_add_co_ci_u32_e32 v6, vcc_lo, v6, v10, vcc_lo
	v_mul_hi_u32 v15, v7, v4
	v_mad_u64_u32 v[11:12], null, v8, v4, 0
	v_mad_u64_u32 v[9:10], null, v7, v6, 0
	;; [unrolled: 1-line block ×3, first 2 shown]
	v_add_co_u32 v4, vcc_lo, v15, v9
	v_add_co_ci_u32_e32 v6, vcc_lo, 0, v10, vcc_lo
	v_add_co_u32 v4, vcc_lo, v4, v11
	v_add_co_ci_u32_e32 v4, vcc_lo, v6, v12, vcc_lo
	v_add_co_ci_u32_e32 v6, vcc_lo, 0, v14, vcc_lo
	v_add_co_u32 v4, vcc_lo, v4, v13
	v_add_co_ci_u32_e32 v6, vcc_lo, 0, v6, vcc_lo
	v_mul_lo_u32 v11, s25, v4
	v_mad_u64_u32 v[9:10], null, s24, v4, 0
	v_mul_lo_u32 v12, s24, v6
	v_sub_co_u32 v9, vcc_lo, v7, v9
	v_add3_u32 v10, v10, v12, v11
	v_sub_nc_u32_e32 v11, v8, v10
	v_subrev_co_ci_u32_e64 v11, s0, s25, v11, vcc_lo
	v_add_co_u32 v12, s0, v4, 2
	v_add_co_ci_u32_e64 v13, s0, 0, v6, s0
	v_sub_co_u32 v14, s0, v9, s24
	v_sub_co_ci_u32_e32 v10, vcc_lo, v8, v10, vcc_lo
	v_subrev_co_ci_u32_e64 v11, s0, 0, v11, s0
	v_cmp_le_u32_e32 vcc_lo, s24, v14
	v_cmp_eq_u32_e64 s0, s25, v10
	v_cndmask_b32_e64 v14, 0, -1, vcc_lo
	v_cmp_le_u32_e32 vcc_lo, s25, v11
	v_cndmask_b32_e64 v15, 0, -1, vcc_lo
	v_cmp_le_u32_e32 vcc_lo, s24, v9
	;; [unrolled: 2-line block ×3, first 2 shown]
	v_cndmask_b32_e64 v16, 0, -1, vcc_lo
	v_cmp_eq_u32_e32 vcc_lo, s25, v11
	v_cndmask_b32_e64 v9, v16, v9, s0
	v_cndmask_b32_e32 v11, v15, v14, vcc_lo
	v_add_co_u32 v14, vcc_lo, v4, 1
	v_add_co_ci_u32_e32 v15, vcc_lo, 0, v6, vcc_lo
	v_cmp_ne_u32_e32 vcc_lo, 0, v11
	v_cndmask_b32_e32 v10, v15, v13, vcc_lo
	v_cndmask_b32_e32 v11, v14, v12, vcc_lo
	v_cmp_ne_u32_e32 vcc_lo, 0, v9
	v_cndmask_b32_e32 v77, v6, v10, vcc_lo
	v_cndmask_b32_e32 v76, v4, v11, vcc_lo
.LBB0_4:                                ;   in Loop: Header=BB0_2 Depth=1
	s_andn2_saveexec_b32 s0, s1
	s_cbranch_execz .LBB0_6
; %bb.5:                                ;   in Loop: Header=BB0_2 Depth=1
	v_cvt_f32_u32_e32 v4, s24
	s_sub_i32 s1, 0, s24
	v_mov_b32_e32 v77, v5
	v_rcp_iflag_f32_e32 v4, v4
	v_mul_f32_e32 v4, 0x4f7ffffe, v4
	v_cvt_u32_f32_e32 v4, v4
	v_mul_lo_u32 v6, s1, v4
	v_mul_hi_u32 v6, v4, v6
	v_add_nc_u32_e32 v4, v4, v6
	v_mul_hi_u32 v4, v7, v4
	v_mul_lo_u32 v6, v4, s24
	v_add_nc_u32_e32 v9, 1, v4
	v_sub_nc_u32_e32 v6, v7, v6
	v_subrev_nc_u32_e32 v10, s24, v6
	v_cmp_le_u32_e32 vcc_lo, s24, v6
	v_cndmask_b32_e32 v6, v6, v10, vcc_lo
	v_cndmask_b32_e32 v4, v4, v9, vcc_lo
	v_cmp_le_u32_e32 vcc_lo, s24, v6
	v_add_nc_u32_e32 v9, 1, v4
	v_cndmask_b32_e32 v76, v4, v9, vcc_lo
.LBB0_6:                                ;   in Loop: Header=BB0_2 Depth=1
	s_or_b32 exec_lo, exec_lo, s0
	v_mul_lo_u32 v4, v77, s24
	v_mul_lo_u32 v6, v76, s25
	s_load_dwordx2 s[0:1], s[6:7], 0x0
	v_mad_u64_u32 v[9:10], null, v76, s24, 0
	s_load_dwordx2 s[24:25], s[2:3], 0x0
	s_add_u32 s22, s22, 1
	s_addc_u32 s23, s23, 0
	s_add_u32 s2, s2, 8
	s_addc_u32 s3, s3, 0
	s_add_u32 s6, s6, 8
	v_add3_u32 v4, v10, v6, v4
	v_sub_co_u32 v6, vcc_lo, v7, v9
	s_addc_u32 s7, s7, 0
	s_add_u32 s20, s20, 8
	v_sub_co_ci_u32_e32 v4, vcc_lo, v8, v4, vcc_lo
	s_addc_u32 s21, s21, 0
	s_waitcnt lgkmcnt(0)
	v_mul_lo_u32 v7, s0, v4
	v_mul_lo_u32 v8, s1, v6
	v_mad_u64_u32 v[1:2], null, s0, v6, v[1:2]
	v_mul_lo_u32 v4, s24, v4
	v_mul_lo_u32 v9, s25, v6
	v_mad_u64_u32 v[72:73], null, s24, v6, v[72:73]
	v_cmp_ge_u64_e64 s0, s[22:23], s[14:15]
	v_add3_u32 v2, v8, v2, v7
	v_add3_u32 v73, v9, v73, v4
	s_and_b32 vcc_lo, exec_lo, s0
	s_cbranch_vccnz .LBB0_8
; %bb.7:                                ;   in Loop: Header=BB0_2 Depth=1
	v_mov_b32_e32 v7, v76
	v_mov_b32_e32 v8, v77
	s_branch .LBB0_2
.LBB0_8:
	s_load_dwordx2 s[0:1], s[4:5], 0x28
	v_mul_hi_u32 v4, 0xaaaaaaab, v3
	s_lshl_b64 s[4:5], s[14:15], 3
                                        ; implicit-def: $vgpr74
                                        ; implicit-def: $vgpr86
                                        ; implicit-def: $vgpr84
                                        ; implicit-def: $vgpr83
                                        ; implicit-def: $vgpr82
                                        ; implicit-def: $vgpr81
                                        ; implicit-def: $vgpr80
                                        ; implicit-def: $vgpr79
                                        ; implicit-def: $vgpr78
	s_add_u32 s2, s18, s4
	s_addc_u32 s3, s19, s5
	v_lshrrev_b32_e32 v4, 1, v4
	v_lshl_add_u32 v5, v4, 1, v4
	v_mul_hi_u32 v4, 0x3c3c3c4, v0
	v_sub_nc_u32_e32 v3, v3, v5
	s_waitcnt lgkmcnt(0)
	v_cmp_gt_u64_e32 vcc_lo, s[0:1], v[76:77]
	v_cmp_le_u64_e64 s0, s[0:1], v[76:77]
	s_and_saveexec_b32 s1, s0
	s_xor_b32 s0, exec_lo, s1
; %bb.9:
	v_mul_u32_u24_e32 v1, 0x44, v4
                                        ; implicit-def: $vgpr4
	v_sub_nc_u32_e32 v74, v0, v1
                                        ; implicit-def: $vgpr0
                                        ; implicit-def: $vgpr1_vgpr2
	v_add_nc_u32_e32 v86, 0x44, v74
	v_add_nc_u32_e32 v84, 0x88, v74
	;; [unrolled: 1-line block ×8, first 2 shown]
; %bb.10:
	s_or_saveexec_b32 s1, s0
	v_mul_u32_u24_e32 v3, 0x485, v3
	v_lshlrev_b32_e32 v75, 4, v3
	s_xor_b32 exec_lo, exec_lo, s1
	s_cbranch_execz .LBB0_12
; %bb.11:
	s_add_u32 s4, s16, s4
	s_addc_u32 s5, s17, s5
	v_lshlrev_b64 v[1:2], 4, v[1:2]
	s_load_dwordx2 s[4:5], s[4:5], 0x0
	s_waitcnt lgkmcnt(0)
	v_mul_lo_u32 v3, s5, v76
	v_mul_lo_u32 v7, s4, v77
	v_mad_u64_u32 v[5:6], null, s4, v76, 0
	v_add3_u32 v6, v6, v7, v3
	v_mul_u32_u24_e32 v7, 0x44, v4
	v_lshlrev_b64 v[3:4], 4, v[5:6]
	v_sub_nc_u32_e32 v74, v0, v7
	v_lshlrev_b32_e32 v68, 4, v74
	v_add_co_u32 v0, s0, s8, v3
	v_add_co_ci_u32_e64 v3, s0, s9, v4, s0
	v_add_nc_u32_e32 v86, 0x44, v74
	v_add_co_u32 v0, s0, v0, v1
	v_add_co_ci_u32_e64 v1, s0, v3, v2, s0
	v_add_nc_u32_e32 v84, 0x88, v74
	v_add_co_u32 v8, s0, v0, v68
	v_add_co_ci_u32_e64 v9, s0, 0, v1, s0
	s_clause 0x1
	global_load_dwordx4 v[0:3], v[8:9], off
	global_load_dwordx4 v[4:7], v[8:9], off offset:1088
	v_add_co_u32 v12, s0, 0x800, v8
	v_add_co_ci_u32_e64 v13, s0, 0, v9, s0
	v_add_co_u32 v20, s0, 0x1000, v8
	v_add_co_ci_u32_e64 v21, s0, 0, v9, s0
	;; [unrolled: 2-line block ×8, first 2 shown]
	s_clause 0xe
	global_load_dwordx4 v[8:11], v[12:13], off offset:128
	global_load_dwordx4 v[12:15], v[12:13], off offset:1216
	;; [unrolled: 1-line block ×15, first 2 shown]
	v_add_nc_u32_e32 v83, 0xcc, v74
	v_add_nc_u32_e32 v82, 0x110, v74
	v_add3_u32 v68, 0, v75, v68
	v_add_nc_u32_e32 v81, 0x154, v74
	v_add_nc_u32_e32 v80, 0x198, v74
	;; [unrolled: 1-line block ×4, first 2 shown]
	s_waitcnt vmcnt(16)
	ds_write_b128 v68, v[0:3]
	s_waitcnt vmcnt(15)
	ds_write_b128 v68, v[4:7] offset:1088
	s_waitcnt vmcnt(14)
	ds_write_b128 v68, v[8:11] offset:2176
	;; [unrolled: 2-line block ×16, first 2 shown]
.LBB0_12:
	s_or_b32 exec_lo, exec_lo, s1
	v_add_nc_u32_e32 v227, 0, v75
	v_lshlrev_b32_e32 v229, 4, v74
	s_load_dwordx2 s[2:3], s[2:3], 0x0
	s_waitcnt lgkmcnt(0)
	s_barrier
	buffer_gl0_inv
	v_add_nc_u32_e32 v228, v227, v229
	v_add3_u32 v230, 0, v229, v75
	s_mov_b32 s42, 0x5d8e7cdc
	s_mov_b32 s48, 0x370991
	ds_read_b128 v[0:3], v228
	ds_read_b128 v[4:7], v230 offset:1088
	ds_read_b128 v[12:15], v230 offset:2176
	;; [unrolled: 1-line block ×7, first 2 shown]
	s_mov_b32 s43, 0xbfd71e95
	s_mov_b32 s49, 0x3fedd6d0
	;; [unrolled: 1-line block ×14, first 2 shown]
	s_waitcnt lgkmcnt(6)
	v_add_f64 v[18:19], v[2:3], v[6:7]
	v_add_f64 v[16:17], v[0:1], v[4:5]
	s_mov_b32 s8, 0x4363dd80
	s_mov_b32 s28, 0xacd6c6b4
	s_waitcnt lgkmcnt(1)
	v_add_f64 v[103:104], v[10:11], v[26:27]
	v_add_f64 v[105:106], v[10:11], -v[26:27]
	s_mov_b32 s27, 0xbfeca52d
	s_mov_b32 s17, 0x3fdc86fa
	;; [unrolled: 1-line block ×10, first 2 shown]
	v_add_f64 v[89:90], v[8:9], v[24:25]
	s_mov_b32 s18, 0xc61f0d01
	s_mov_b32 s24, 0x6ed5f1bb
	;; [unrolled: 1-line block ×5, first 2 shown]
	v_add_f64 v[18:19], v[18:19], v[14:15]
	v_add_f64 v[16:17], v[16:17], v[12:13]
	s_mov_b32 s25, 0xbfe348c8
	s_mov_b32 s35, 0xbfeb34fa
	v_mul_f64 v[133:134], v[103:104], s[16:17]
	v_mul_f64 v[135:136], v[105:106], s[26:27]
	s_mov_b32 s37, 0xbfef7484
	s_mov_b32 s45, 0x3feca52d
	;; [unrolled: 1-line block ×5, first 2 shown]
	v_mul_f64 v[185:186], v[105:106], s[38:39]
	v_mul_f64 v[187:188], v[103:104], s[24:25]
	s_mov_b32 s41, 0x3feec746
	s_mov_b32 s47, 0x3fe9895b
	;; [unrolled: 1-line block ×8, first 2 shown]
	v_mul_f64 v[191:192], v[103:104], s[36:37]
	v_add_f64 v[18:19], v[18:19], v[10:11]
	v_add_f64 v[16:17], v[16:17], v[8:9]
	v_mul_f64 v[189:190], v[105:106], s[50:51]
	v_lshlrev_b32_e32 v85, 4, v78
	ds_read_b128 v[20:23], v230 offset:16320
	v_add_f64 v[30:31], v[18:19], v[113:114]
	v_add_f64 v[28:29], v[16:17], v[111:112]
	ds_read_b128 v[16:19], v230 offset:17408
	ds_read_b128 v[119:122], v230 offset:8704
	;; [unrolled: 1-line block ×3, first 2 shown]
	s_waitcnt lgkmcnt(3)
	v_add_f64 v[101:102], v[12:13], v[20:21]
	v_add_f64 v[99:100], v[12:13], -v[20:21]
	v_add_f64 v[107:108], v[14:15], v[22:23]
	v_add_f64 v[109:110], v[14:15], -v[22:23]
	s_waitcnt lgkmcnt(2)
	v_add_f64 v[129:130], v[6:7], -v[18:19]
	v_add_f64 v[46:47], v[30:31], v[117:118]
	v_add_f64 v[44:45], v[28:29], v[115:116]
	ds_read_b128 v[125:128], v230 offset:7616
	ds_read_b128 v[40:43], v230 offset:10880
	;; [unrolled: 1-line block ×5, first 2 shown]
	v_add_f64 v[131:132], v[6:7], v[18:19]
	v_add_f64 v[123:124], v[4:5], v[16:17]
	v_add_f64 v[14:15], v[4:5], -v[16:17]
	s_waitcnt lgkmcnt(5)
	v_add_f64 v[48:49], v[121:122], v[139:140]
	v_add_f64 v[50:51], v[121:122], -v[139:140]
	v_add_f64 v[6:7], v[119:120], v[137:138]
	v_add_f64 v[4:5], v[8:9], -v[24:25]
	s_waitcnt lgkmcnt(0)
	s_barrier
	buffer_gl0_inv
	v_mul_f64 v[145:146], v[109:110], s[20:21]
	v_mul_f64 v[147:148], v[107:108], s[0:1]
	;; [unrolled: 1-line block ×6, first 2 shown]
	v_add_f64 v[54:55], v[127:128], v[42:43]
	v_add_f64 v[91:92], v[117:118], v[34:35]
	;; [unrolled: 1-line block ×5, first 2 shown]
	v_add_f64 v[97:98], v[113:114], -v[30:31]
	v_add_f64 v[95:96], v[117:118], -v[34:35]
	v_add_f64 v[56:57], v[62:63], v[36:37]
	v_add_f64 v[66:67], v[64:65], v[38:39]
	v_add_f64 v[58:59], v[62:63], -v[36:37]
	v_add_f64 v[68:69], v[64:65], -v[38:39]
	v_add_f64 v[64:65], v[115:116], v[32:33]
	v_add_f64 v[62:63], v[115:116], -v[32:33]
	v_mul_f64 v[141:142], v[129:130], s[42:43]
	v_mul_f64 v[143:144], v[131:132], s[48:49]
	v_add_f64 v[44:45], v[119:120], -v[137:138]
	v_add_f64 v[60:61], v[127:128], -v[42:43]
	v_mul_f64 v[149:150], v[129:130], s[20:21]
	v_mul_f64 v[163:164], v[131:132], s[0:1]
	v_add_f64 v[46:47], v[125:126], v[40:41]
	v_add_f64 v[52:53], v[125:126], -v[40:41]
	v_mul_f64 v[151:152], v[129:130], s[26:27]
	v_mul_f64 v[153:154], v[129:130], s[6:7]
	;; [unrolled: 1-line block ×4, first 2 shown]
	v_add_f64 v[113:114], v[70:71], v[127:128]
	v_add_f64 v[12:13], v[10:11], v[125:126]
	v_mul_f64 v[159:160], v[129:130], s[8:9]
	v_mul_f64 v[161:162], v[129:130], s[28:29]
	v_fma_f64 v[221:222], v[101:102], s[0:1], v[145:146]
	v_add_f64 v[87:88], v[111:112], v[28:29]
	v_add_f64 v[70:71], v[111:112], -v[28:29]
	v_mul_f64 v[10:11], v[97:98], s[6:7]
	v_mul_f64 v[8:9], v[93:94], s[4:5]
	;; [unrolled: 1-line block ×3, first 2 shown]
	v_fma_f64 v[215:216], v[123:124], s[48:49], v[141:142]
	v_fma_f64 v[219:220], v[14:15], s[52:53], v[143:144]
	;; [unrolled: 1-line block ×3, first 2 shown]
	v_mul_f64 v[167:168], v[131:132], s[4:5]
	v_fma_f64 v[225:226], v[123:124], s[0:1], v[149:150]
	v_fma_f64 v[149:150], v[123:124], s[0:1], -v[149:150]
	v_mul_f64 v[169:170], v[131:132], s[18:19]
	v_mul_f64 v[171:172], v[131:132], s[24:25]
	;; [unrolled: 1-line block ×4, first 2 shown]
	v_fma_f64 v[223:224], v[4:5], s[44:45], v[133:134]
	v_fma_f64 v[141:142], v[123:124], s[48:49], -v[141:142]
	v_add_f64 v[117:118], v[113:114], v[121:122]
	v_add_f64 v[115:116], v[12:13], v[119:120]
	v_fma_f64 v[231:232], v[123:124], s[16:17], v[151:152]
	v_fma_f64 v[151:152], v[123:124], s[16:17], -v[151:152]
	v_fma_f64 v[233:234], v[123:124], s[4:5], v[153:154]
	v_fma_f64 v[153:154], v[123:124], s[4:5], -v[153:154]
	;; [unrolled: 2-line block ×4, first 2 shown]
	v_add_f64 v[215:216], v[0:1], v[215:216]
	v_add_f64 v[219:220], v[2:3], v[219:220]
	v_fma_f64 v[239:240], v[123:124], s[34:35], v[159:160]
	v_fma_f64 v[159:160], v[123:124], s[34:35], -v[159:160]
	v_fma_f64 v[241:242], v[123:124], s[36:37], v[161:162]
	v_add_f64 v[143:144], v[2:3], v[143:144]
	v_add_f64 v[225:226], v[0:1], v[225:226]
	;; [unrolled: 1-line block ×3, first 2 shown]
	v_mul_f64 v[129:130], v[95:96], s[14:15]
	v_mul_f64 v[131:132], v[91:92], s[18:19]
	;; [unrolled: 1-line block ×3, first 2 shown]
	v_fma_f64 v[243:244], v[14:15], s[40:41], v[169:170]
	v_add_f64 v[139:140], v[117:118], v[139:140]
	v_add_f64 v[137:138], v[115:116], v[137:138]
	v_fma_f64 v[169:170], v[14:15], s[14:15], v[169:170]
	v_fma_f64 v[145:146], v[101:102], s[0:1], -v[145:146]
	v_add_f64 v[141:142], v[0:1], v[141:142]
	v_fma_f64 v[245:246], v[14:15], s[46:47], v[171:172]
	v_fma_f64 v[171:172], v[14:15], s[38:39], v[171:172]
	;; [unrolled: 1-line block ×3, first 2 shown]
	v_mul_f64 v[125:126], v[68:69], s[38:39]
	v_mul_f64 v[12:13], v[66:67], s[24:25]
	v_add_f64 v[215:216], v[221:222], v[215:216]
	v_fma_f64 v[221:222], v[101:102], s[4:5], v[177:178]
	v_fma_f64 v[177:178], v[101:102], s[4:5], -v[177:178]
	v_mul_f64 v[195:196], v[93:94], s[36:37]
	v_mul_f64 v[197:198], v[95:96], s[54:55]
	v_fma_f64 v[133:134], v[4:5], s[26:27], v[133:134]
	v_mul_f64 v[121:122], v[60:61], s[8:9]
	v_mul_f64 v[127:128], v[54:55], s[34:35]
	;; [unrolled: 1-line block ×6, first 2 shown]
	v_add_f64 v[42:43], v[139:140], v[42:43]
	v_add_f64 v[40:41], v[137:138], v[40:41]
	v_fma_f64 v[137:138], v[99:100], s[22:23], v[147:148]
	v_fma_f64 v[139:140], v[89:90], s[16:17], v[135:136]
	;; [unrolled: 1-line block ×3, first 2 shown]
	v_add_f64 v[141:142], v[145:146], v[141:142]
	v_fma_f64 v[135:136], v[89:90], s[16:17], -v[135:136]
	v_fma_f64 v[145:146], v[101:102], s[24:25], v[181:182]
	v_mul_f64 v[203:204], v[66:67], s[18:19]
	v_mul_f64 v[205:206], v[60:61], s[44:45]
	;; [unrolled: 1-line block ×3, first 2 shown]
	v_add_f64 v[221:222], v[221:222], v[225:226]
	v_add_f64 v[149:150], v[177:178], v[149:150]
	v_fma_f64 v[177:178], v[4:5], s[46:47], v[187:188]
	v_fma_f64 v[225:226], v[64:65], s[18:19], v[129:130]
	;; [unrolled: 1-line block ×3, first 2 shown]
	v_fma_f64 v[129:130], v[64:65], s[18:19], -v[129:130]
	v_mul_f64 v[207:208], v[54:55], s[16:17]
	v_mul_f64 v[117:118], v[50:51], s[52:53]
	;; [unrolled: 1-line block ×4, first 2 shown]
	v_fma_f64 v[181:182], v[101:102], s[24:25], -v[181:182]
	v_add_f64 v[38:39], v[42:43], v[38:39]
	v_fma_f64 v[42:43], v[14:15], s[22:23], v[163:164]
	v_add_f64 v[36:37], v[40:41], v[36:37]
	v_fma_f64 v[40:41], v[123:124], s[36:37], -v[161:162]
	v_fma_f64 v[123:124], v[14:15], s[20:21], v[163:164]
	v_add_f64 v[137:138], v[137:138], v[219:220]
	v_fma_f64 v[161:162], v[14:15], s[44:45], v[165:166]
	v_fma_f64 v[163:164], v[14:15], s[26:27], v[165:166]
	;; [unrolled: 1-line block ×8, first 2 shown]
	v_add_f64 v[143:144], v[147:148], v[143:144]
	v_fma_f64 v[147:148], v[87:88], s[4:5], v[10:11]
	v_add_f64 v[139:140], v[139:140], v[215:216]
	v_fma_f64 v[215:216], v[70:71], s[30:31], v[8:9]
	v_add_f64 v[135:136], v[135:136], v[141:142]
	v_fma_f64 v[10:11], v[87:88], s[4:5], -v[10:11]
	v_fma_f64 v[8:9], v[70:71], s[6:7], v[8:9]
	v_fma_f64 v[141:142], v[44:45], s[50:51], v[113:114]
	v_add_f64 v[34:35], v[38:39], v[34:35]
	v_fma_f64 v[38:39], v[99:100], s[30:31], v[179:180]
	v_add_f64 v[42:43], v[2:3], v[42:43]
	v_add_f64 v[36:37], v[36:37], v[32:33]
	;; [unrolled: 1-line block ×4, first 2 shown]
	v_fma_f64 v[223:224], v[62:63], s[40:41], v[131:132]
	v_add_f64 v[179:180], v[0:1], v[231:232]
	v_fma_f64 v[131:132], v[62:63], s[14:15], v[131:132]
	v_add_f64 v[161:162], v[2:3], v[161:162]
	v_fma_f64 v[231:232], v[46:47], s[34:35], -v[121:122]
	v_add_f64 v[151:152], v[0:1], v[151:152]
	v_add_f64 v[163:164], v[2:3], v[163:164]
	v_mul_f64 v[115:116], v[48:49], s[48:49]
	v_add_f64 v[133:134], v[133:134], v[143:144]
	v_fma_f64 v[143:144], v[99:100], s[46:47], v[183:184]
	v_add_f64 v[139:140], v[147:148], v[139:140]
	v_fma_f64 v[147:148], v[6:7], s[36:37], v[111:112]
	v_fma_f64 v[183:184], v[99:100], s[38:39], v[183:184]
	v_add_f64 v[10:11], v[10:11], v[135:136]
	v_fma_f64 v[135:136], v[56:57], s[18:19], v[201:202]
	v_mul_f64 v[213:214], v[95:96], s[22:23]
	v_add_f64 v[30:31], v[34:35], v[30:31]
	v_fma_f64 v[34:35], v[56:57], s[24:25], v[125:126]
	v_add_f64 v[38:39], v[38:39], v[42:43]
	v_fma_f64 v[42:43], v[89:90], s[24:25], v[185:186]
	v_fma_f64 v[185:186], v[89:90], s[24:25], -v[185:186]
	v_add_f64 v[123:124], v[175:176], v[123:124]
	v_add_f64 v[137:138], v[215:216], v[137:138]
	;; [unrolled: 1-line block ×3, first 2 shown]
	v_fma_f64 v[36:37], v[58:59], s[46:47], v[12:13]
	v_fma_f64 v[175:176], v[46:47], s[34:35], v[121:122]
	v_add_f64 v[145:146], v[145:146], v[179:180]
	v_fma_f64 v[179:180], v[52:53], s[54:55], v[127:128]
	v_fma_f64 v[215:216], v[89:90], s[36:37], v[189:190]
	v_fma_f64 v[125:126], v[56:57], s[24:25], -v[125:126]
	v_add_f64 v[8:9], v[8:9], v[133:134]
	v_fma_f64 v[12:13], v[58:59], s[38:39], v[12:13]
	v_add_f64 v[139:140], v[225:226], v[139:140]
	v_fma_f64 v[225:226], v[62:63], s[8:9], v[199:200]
	v_fma_f64 v[199:200], v[62:63], s[54:55], v[199:200]
	;; [unrolled: 1-line block ×4, first 2 shown]
	v_add_f64 v[10:11], v[129:130], v[10:11]
	v_add_f64 v[30:31], v[30:31], v[26:27]
	v_mul_f64 v[217:218], v[91:92], s[0:1]
	v_add_f64 v[38:39], v[177:178], v[38:39]
	v_add_f64 v[42:43], v[42:43], v[221:222]
	v_fma_f64 v[177:178], v[87:88], s[36:37], v[193:194]
	v_add_f64 v[149:150], v[185:186], v[149:150]
	v_fma_f64 v[185:186], v[70:71], s[50:51], v[195:196]
	v_fma_f64 v[193:194], v[87:88], s[36:37], -v[193:194]
	v_add_f64 v[123:124], v[187:188], v[123:124]
	v_fma_f64 v[187:188], v[64:65], s[34:35], v[197:198]
	v_add_f64 v[137:138], v[223:224], v[137:138]
	v_fma_f64 v[195:196], v[70:71], s[28:29], v[195:196]
	v_fma_f64 v[197:198], v[64:65], s[34:35], -v[197:198]
	v_add_f64 v[28:29], v[28:29], v[24:25]
	v_fma_f64 v[221:222], v[4:5], s[28:29], v[191:192]
	v_fma_f64 v[223:224], v[58:59], s[14:15], v[203:204]
	v_add_f64 v[34:35], v[34:35], v[139:140]
	v_add_f64 v[145:146], v[215:216], v[145:146]
	;; [unrolled: 1-line block ×3, first 2 shown]
	v_mul_f64 v[32:33], v[107:108], s[36:37]
	v_fma_f64 v[201:202], v[56:57], s[18:19], -v[201:202]
	v_fma_f64 v[127:128], v[52:53], s[8:9], v[127:128]
	v_add_f64 v[22:23], v[30:31], v[22:23]
	v_fma_f64 v[189:190], v[89:90], s[36:37], -v[189:190]
	v_add_f64 v[165:166], v[2:3], v[165:166]
	v_add_f64 v[26:27], v[0:1], v[153:154]
	;; [unrolled: 1-line block ×3, first 2 shown]
	v_fma_f64 v[177:178], v[52:53], s[26:27], v[207:208]
	v_add_f64 v[38:39], v[185:186], v[38:39]
	v_add_f64 v[149:150], v[193:194], v[149:150]
	v_fma_f64 v[185:186], v[70:71], s[14:15], v[211:212]
	v_add_f64 v[193:194], v[0:1], v[233:234]
	v_add_f64 v[36:37], v[36:37], v[137:138]
	;; [unrolled: 1-line block ×37, first 2 shown]
	v_fma_f64 v[20:21], v[4:5], s[50:51], v[191:192]
	v_fma_f64 v[147:148], v[101:102], s[36:37], v[119:120]
	v_add_f64 v[42:43], v[135:136], v[42:43]
	v_mul_f64 v[121:122], v[105:106], s[40:41]
	v_add_f64 v[135:136], v[223:224], v[161:162]
	v_fma_f64 v[139:140], v[64:65], s[0:1], v[213:214]
	v_add_f64 v[129:130], v[201:202], v[129:130]
	v_mul_f64 v[16:17], v[68:69], s[42:43]
	v_add_f64 v[2:3], v[141:142], v[149:150]
	v_fma_f64 v[141:142], v[6:7], s[48:49], v[117:118]
	v_add_f64 v[22:23], v[185:186], v[195:196]
	v_fma_f64 v[125:126], v[62:63], s[20:21], v[217:218]
	v_mul_f64 v[131:132], v[66:67], s[48:49]
	v_add_f64 v[149:150], v[189:190], v[40:41]
	v_fma_f64 v[151:152], v[87:88], s[18:19], -v[209:210]
	v_fma_f64 v[159:160], v[44:45], s[42:43], v[115:116]
	v_fma_f64 v[161:162], v[58:59], s[40:41], v[203:204]
	;; [unrolled: 1-line block ×3, first 2 shown]
	v_fma_f64 v[173:174], v[46:47], s[16:17], -v[205:206]
	v_add_f64 v[40:41], v[231:232], v[123:124]
	v_mul_f64 v[181:182], v[107:108], s[34:35]
	v_fma_f64 v[189:190], v[70:71], s[40:41], v[211:212]
	v_add_f64 v[18:19], v[20:21], v[18:19]
	v_add_f64 v[20:21], v[127:128], v[12:13]
	;; [unrolled: 1-line block ×3, first 2 shown]
	v_mul_f64 v[42:43], v[103:104], s[18:19]
	v_add_f64 v[135:136], v[177:178], v[135:136]
	v_mul_f64 v[177:178], v[109:110], s[54:55]
	v_add_f64 v[127:128], v[147:148], v[193:194]
	;; [unrolled: 2-line block ×3, first 2 shown]
	v_fma_f64 v[183:184], v[56:57], s[48:49], v[16:17]
	v_mul_f64 v[185:186], v[60:61], s[6:7]
	v_add_f64 v[22:23], v[125:126], v[22:23]
	v_fma_f64 v[191:192], v[58:59], s[52:53], v[131:132]
	v_mul_f64 v[195:196], v[54:55], s[4:5]
	v_add_f64 v[147:148], v[151:152], v[149:150]
	v_fma_f64 v[149:150], v[64:65], s[0:1], -v[213:214]
	v_mul_f64 v[125:126], v[93:94], s[48:49]
	v_add_f64 v[151:152], v[163:164], v[165:166]
	v_add_f64 v[145:146], v[161:162], v[145:146]
	v_mul_f64 v[165:166], v[105:106], s[22:23]
	v_fma_f64 v[163:164], v[99:100], s[8:9], v[181:182]
	v_mul_f64 v[193:194], v[103:104], s[0:1]
	v_add_f64 v[18:19], v[189:190], v[18:19]
	v_fma_f64 v[189:190], v[62:63], s[22:23], v[217:218]
	v_add_f64 v[12:13], v[141:142], v[133:134]
	v_fma_f64 v[141:142], v[89:90], s[18:19], v[121:122]
	;; [unrolled: 2-line block ×3, first 2 shown]
	v_fma_f64 v[161:162], v[101:102], s[34:35], v[177:178]
	v_add_f64 v[133:134], v[173:174], v[129:130]
	v_fma_f64 v[173:174], v[87:88], s[48:49], v[123:124]
	v_add_f64 v[139:140], v[183:184], v[139:140]
	v_fma_f64 v[183:184], v[46:47], s[4:5], v[185:186]
	v_mul_f64 v[135:136], v[50:51], s[8:9]
	v_add_f64 v[191:192], v[191:192], v[22:23]
	v_fma_f64 v[197:198], v[52:53], s[30:31], v[195:196]
	v_mul_f64 v[22:23], v[48:49], s[34:35]
	;; [unrolled: 3-line block ×3, first 2 shown]
	v_mul_f64 v[199:200], v[97:98], s[26:27]
	v_mul_f64 v[201:202], v[93:94], s[16:17]
	v_add_f64 v[153:154], v[163:164], v[153:154]
	v_fma_f64 v[163:164], v[4:5], s[20:21], v[193:194]
	v_fma_f64 v[131:132], v[58:59], s[42:43], v[131:132]
	v_add_f64 v[18:19], v[189:190], v[18:19]
	v_fma_f64 v[177:178], v[101:102], s[34:35], -v[177:178]
	v_add_f64 v[141:142], v[141:142], v[127:128]
	v_mul_f64 v[127:128], v[95:96], s[26:27]
	v_add_f64 v[151:152], v[159:160], v[151:152]
	v_fma_f64 v[159:160], v[70:71], s[42:43], v[125:126]
	v_add_f64 v[143:144], v[161:162], v[143:144]
	v_fma_f64 v[161:162], v[89:90], s[0:1], v[165:166]
	v_fma_f64 v[181:182], v[99:100], s[54:55], v[181:182]
	v_mul_f64 v[203:204], v[109:110], s[40:41]
	v_fma_f64 v[16:17], v[56:57], s[48:49], -v[16:17]
	v_add_f64 v[183:184], v[183:184], v[139:140]
	v_add_f64 v[189:190], v[197:198], v[191:192]
	v_fma_f64 v[191:192], v[6:7], s[34:35], v[135:136]
	v_fma_f64 v[197:198], v[44:45], s[54:55], v[22:23]
	v_mul_f64 v[139:140], v[68:69], s[8:9]
	v_fma_f64 v[205:206], v[62:63], s[44:45], v[129:130]
	v_mul_f64 v[207:208], v[66:67], s[34:35]
	v_mul_f64 v[209:210], v[95:96], s[28:29]
	;; [unrolled: 1-line block ×3, first 2 shown]
	v_add_f64 v[153:154], v[163:164], v[153:154]
	v_fma_f64 v[163:164], v[70:71], s[44:45], v[201:202]
	v_add_f64 v[213:214], v[131:132], v[18:19]
	v_fma_f64 v[195:196], v[52:53], s[6:7], v[195:196]
	;; [unrolled: 2-line block ×3, first 2 shown]
	v_add_f64 v[155:156], v[177:178], v[155:156]
	v_add_f64 v[151:152], v[159:160], v[151:152]
	v_fma_f64 v[165:166], v[89:90], s[0:1], -v[165:166]
	v_add_f64 v[143:144], v[161:162], v[143:144]
	v_fma_f64 v[161:162], v[87:88], s[16:17], v[199:200]
	v_add_f64 v[167:168], v[181:182], v[167:168]
	v_fma_f64 v[177:178], v[4:5], s[22:23], v[193:194]
	v_add_f64 v[131:132], v[149:150], v[145:146]
	v_mul_f64 v[181:182], v[105:106], s[42:43]
	v_add_f64 v[147:148], v[16:17], v[147:148]
	v_fma_f64 v[185:186], v[46:47], s[4:5], -v[185:186]
	v_mul_f64 v[159:160], v[107:108], s[18:19]
	v_fma_f64 v[149:150], v[56:57], s[34:35], v[139:140]
	v_add_f64 v[16:17], v[191:192], v[183:184]
	v_add_f64 v[18:19], v[197:198], v[189:190]
	v_fma_f64 v[191:192], v[58:59], s[54:55], v[207:208]
	v_mul_f64 v[193:194], v[60:61], s[46:47]
	v_add_f64 v[153:154], v[163:164], v[153:154]
	v_fma_f64 v[163:164], v[62:63], s[50:51], v[211:212]
	v_mul_f64 v[197:198], v[68:69], s[30:31]
	v_mul_f64 v[189:190], v[103:104], s[48:49]
	v_add_f64 v[145:146], v[173:174], v[141:142]
	v_fma_f64 v[173:174], v[101:102], s[18:19], v[203:204]
	v_add_f64 v[151:152], v[205:206], v[151:152]
	v_add_f64 v[141:142], v[195:196], v[213:214]
	;; [unrolled: 1-line block ×4, first 2 shown]
	v_fma_f64 v[161:162], v[64:65], s[36:37], v[209:210]
	v_add_f64 v[165:166], v[177:178], v[167:168]
	v_fma_f64 v[177:178], v[70:71], s[26:27], v[201:202]
	v_mul_f64 v[195:196], v[97:98], s[8:9]
	v_fma_f64 v[167:168], v[87:88], s[16:17], -v[199:200]
	v_add_f64 v[147:148], v[185:186], v[147:148]
	v_fma_f64 v[183:184], v[99:100], s[14:15], v[159:160]
	v_mul_f64 v[185:186], v[66:67], s[4:5]
	v_fma_f64 v[159:160], v[99:100], s[40:41], v[159:160]
	v_mul_f64 v[199:200], v[93:94], s[34:35]
	v_fma_f64 v[32:33], v[99:100], s[28:29], v[32:33]
	v_fma_f64 v[201:202], v[46:47], s[24:25], v[193:194]
	v_mul_f64 v[217:218], v[91:92], s[4:5]
	v_add_f64 v[153:154], v[163:164], v[153:154]
	v_mul_f64 v[163:164], v[109:110], s[44:45]
	v_mul_f64 v[109:110], v[109:110], s[52:53]
	v_add_f64 v[145:146], v[149:150], v[145:146]
	v_add_f64 v[169:170], v[173:174], v[169:170]
	v_fma_f64 v[173:174], v[89:90], s[48:49], v[181:182]
	v_add_f64 v[151:152], v[191:192], v[151:152]
	v_fma_f64 v[191:192], v[101:102], s[18:19], -v[203:204]
	v_mul_f64 v[203:204], v[107:108], s[16:17]
	v_add_f64 v[143:144], v[161:162], v[143:144]
	v_fma_f64 v[161:162], v[56:57], s[4:5], v[197:198]
	v_add_f64 v[165:166], v[177:178], v[165:166]
	v_fma_f64 v[177:178], v[62:63], s[28:29], v[211:212]
	v_mul_f64 v[211:212], v[95:96], s[30:31]
	v_mul_f64 v[149:150], v[54:55], s[24:25]
	v_add_f64 v[183:184], v[183:184], v[187:188]
	v_fma_f64 v[187:188], v[4:5], s[52:53], v[189:190]
	v_fma_f64 v[205:206], v[58:59], s[6:7], v[185:186]
	v_add_f64 v[159:160], v[159:160], v[171:172]
	v_fma_f64 v[171:172], v[89:90], s[48:49], -v[181:182]
	v_fma_f64 v[181:182], v[4:5], s[42:43], v[189:190]
	v_mul_f64 v[107:108], v[107:108], s[48:49]
	v_add_f64 v[155:156], v[167:168], v[155:156]
	v_fma_f64 v[167:168], v[64:65], s[36:37], -v[209:210]
	v_add_f64 v[32:33], v[32:33], v[24:25]
	v_add_f64 v[145:146], v[201:202], v[145:146]
	v_mul_f64 v[201:202], v[103:104], s[4:5]
	v_add_f64 v[169:170], v[173:174], v[169:170]
	v_fma_f64 v[173:174], v[87:88], s[34:35], v[195:196]
	v_add_f64 v[157:158], v[191:192], v[157:158]
	v_fma_f64 v[189:190], v[99:100], s[26:27], v[203:204]
	v_mul_f64 v[191:192], v[105:106], s[6:7]
	v_add_f64 v[143:144], v[161:162], v[143:144]
	v_fma_f64 v[161:162], v[101:102], s[16:17], v[163:164]
	v_add_f64 v[165:166], v[177:178], v[165:166]
	v_fma_f64 v[177:178], v[58:59], s[30:31], v[185:186]
	v_mul_f64 v[185:186], v[68:69], s[20:21]
	v_fma_f64 v[163:164], v[101:102], s[16:17], -v[163:164]
	v_add_f64 v[183:184], v[187:188], v[183:184]
	v_fma_f64 v[187:188], v[70:71], s[54:55], v[199:200]
	v_fma_f64 v[209:210], v[52:53], s[38:39], v[149:150]
	v_mul_f64 v[105:106], v[105:106], s[8:9]
	v_add_f64 v[159:160], v[181:182], v[159:160]
	v_fma_f64 v[181:182], v[70:71], s[8:9], v[199:200]
	v_mul_f64 v[199:200], v[93:94], s[24:25]
	v_mul_f64 v[103:104], v[103:104], s[34:35]
	;; [unrolled: 1-line block ×3, first 2 shown]
	v_fma_f64 v[42:43], v[4:5], s[40:41], v[42:43]
	v_mul_f64 v[213:214], v[60:61], s[42:43]
	v_add_f64 v[155:156], v[167:168], v[155:156]
	v_add_f64 v[169:170], v[173:174], v[169:170]
	v_fma_f64 v[173:174], v[64:65], s[4:5], v[211:212]
	v_add_f64 v[157:158], v[171:172], v[157:158]
	v_fma_f64 v[171:172], v[87:88], s[34:35], -v[195:196]
	v_mul_f64 v[195:196], v[97:98], s[46:47]
	v_add_f64 v[161:162], v[161:162], v[175:176]
	v_add_f64 v[175:176], v[189:190], v[179:180]
	v_fma_f64 v[189:190], v[4:5], s[30:31], v[201:202]
	v_fma_f64 v[179:180], v[89:90], s[4:5], v[191:192]
	v_add_f64 v[137:138], v[163:164], v[137:138]
	v_fma_f64 v[163:164], v[99:100], s[44:45], v[203:204]
	v_fma_f64 v[191:192], v[89:90], s[4:5], -v[191:192]
	v_fma_f64 v[203:204], v[99:100], s[42:43], v[107:108]
	v_fma_f64 v[107:108], v[99:100], s[52:53], v[107:108]
	v_add_f64 v[151:152], v[209:210], v[151:152]
	v_mul_f64 v[209:210], v[95:96], s[42:43]
	v_mul_f64 v[97:98], v[97:98], s[22:23]
	v_fma_f64 v[167:168], v[56:57], s[4:5], -v[197:198]
	v_mul_f64 v[197:198], v[66:67], s[0:1]
	v_add_f64 v[159:160], v[181:182], v[159:160]
	v_fma_f64 v[181:182], v[62:63], s[30:31], v[217:218]
	v_mul_f64 v[95:96], v[95:96], s[38:39]
	v_add_f64 v[32:33], v[42:43], v[32:33]
	v_add_f64 v[169:170], v[173:174], v[169:170]
	v_fma_f64 v[173:174], v[56:57], s[0:1], v[185:186]
	v_add_f64 v[157:158], v[171:172], v[157:158]
	v_fma_f64 v[171:172], v[64:65], s[4:5], -v[211:212]
	v_mul_f64 v[211:212], v[91:92], s[48:49]
	v_mul_f64 v[91:92], v[91:92], s[24:25]
	v_add_f64 v[175:176], v[189:190], v[175:176]
	v_fma_f64 v[189:190], v[70:71], s[38:39], v[199:200]
	v_add_f64 v[161:162], v[179:180], v[161:162]
	v_add_f64 v[38:39], v[163:164], v[38:39]
	;; [unrolled: 1-line block ×3, first 2 shown]
	v_fma_f64 v[163:164], v[87:88], s[24:25], -v[195:196]
	v_add_f64 v[36:37], v[203:204], v[36:37]
	v_add_f64 v[28:29], v[107:108], v[28:29]
	v_fma_f64 v[179:180], v[87:88], s[24:25], v[195:196]
	v_add_f64 v[153:154], v[205:206], v[153:154]
	v_fma_f64 v[205:206], v[46:47], s[48:49], v[213:214]
	;; [unrolled: 2-line block ×4, first 2 shown]
	v_mul_f64 v[215:216], v[54:55], s[48:49]
	v_fma_f64 v[117:118], v[6:7], s[48:49], -v[117:118]
	v_add_f64 v[169:170], v[173:174], v[169:170]
	v_fma_f64 v[173:174], v[101:102], s[48:49], v[109:110]
	v_fma_f64 v[109:110], v[101:102], s[48:49], -v[109:110]
	v_fma_f64 v[101:102], v[101:102], s[36:37], -v[119:120]
	v_fma_f64 v[119:120], v[4:5], s[6:7], v[201:202]
	v_add_f64 v[157:158], v[171:172], v[157:158]
	v_add_f64 v[175:176], v[189:190], v[175:176]
	v_fma_f64 v[189:190], v[4:5], s[54:55], v[103:104]
	v_fma_f64 v[103:104], v[4:5], s[8:9], v[103:104]
	v_fma_f64 v[171:172], v[56:57], s[0:1], -v[185:186]
	v_fma_f64 v[185:186], v[62:63], s[52:53], v[211:212]
	v_add_f64 v[155:156], v[167:168], v[155:156]
	v_add_f64 v[165:166], v[177:178], v[165:166]
	;; [unrolled: 1-line block ×3, first 2 shown]
	v_fma_f64 v[179:180], v[64:65], s[48:49], v[209:210]
	v_add_f64 v[143:144], v[205:206], v[143:144]
	v_fma_f64 v[167:168], v[46:47], s[48:49], -v[213:214]
	v_add_f64 v[177:178], v[187:188], v[183:184]
	v_fma_f64 v[183:184], v[58:59], s[22:23], v[197:198]
	v_mul_f64 v[187:188], v[60:61], s[28:29]
	v_mul_f64 v[205:206], v[54:55], s[36:37]
	v_add_f64 v[107:108], v[181:182], v[159:160]
	v_fma_f64 v[219:220], v[52:53], s[52:53], v[215:216]
	v_add_f64 v[34:35], v[173:174], v[34:35]
	v_fma_f64 v[173:174], v[89:90], s[34:35], v[105:106]
	v_add_f64 v[30:31], v[109:110], v[30:31]
	v_fma_f64 v[109:110], v[6:7], s[36:37], -v[111:112]
	v_fma_f64 v[105:106], v[89:90], s[34:35], -v[105:106]
	v_add_f64 v[26:27], v[101:102], v[26:27]
	v_fma_f64 v[89:90], v[89:90], s[18:19], -v[121:122]
	v_add_f64 v[38:39], v[119:120], v[38:39]
	v_add_f64 v[101:102], v[163:164], v[137:138]
	;; [unrolled: 1-line block ×3, first 2 shown]
	v_fma_f64 v[119:120], v[70:71], s[46:47], v[199:200]
	v_add_f64 v[28:29], v[103:104], v[28:29]
	v_fma_f64 v[103:104], v[70:71], s[20:21], v[93:94]
	v_fma_f64 v[93:94], v[70:71], s[22:23], v[93:94]
	;; [unrolled: 1-line block ×4, first 2 shown]
	v_add_f64 v[111:112], v[179:180], v[161:162]
	v_add_f64 v[159:160], v[185:186], v[175:176]
	v_mul_f64 v[121:122], v[50:51], s[22:23]
	v_mul_f64 v[137:138], v[48:49], s[0:1]
	v_add_f64 v[24:25], v[117:118], v[133:134]
	v_mul_f64 v[117:118], v[48:49], s[24:25]
	v_add_f64 v[155:156], v[167:168], v[155:156]
	v_add_f64 v[34:35], v[173:174], v[34:35]
	v_fma_f64 v[167:168], v[52:53], s[42:43], v[215:216]
	v_add_f64 v[4:5], v[109:110], v[40:41]
	v_fma_f64 v[40:41], v[64:65], s[48:49], -v[209:210]
	v_add_f64 v[30:31], v[105:106], v[30:31]
	v_fma_f64 v[105:106], v[87:88], s[0:1], v[97:98]
	v_fma_f64 v[97:98], v[87:88], s[0:1], -v[97:98]
	v_add_f64 v[26:27], v[89:90], v[26:27]
	v_fma_f64 v[87:88], v[87:88], s[48:49], -v[123:124]
	v_add_f64 v[38:39], v[119:120], v[38:39]
	v_mul_f64 v[123:124], v[68:69], s[28:29]
	v_add_f64 v[36:37], v[103:104], v[36:37]
	v_fma_f64 v[103:104], v[64:65], s[24:25], v[95:96]
	v_add_f64 v[28:29], v[93:94], v[28:29]
	v_fma_f64 v[95:96], v[64:65], s[24:25], -v[95:96]
	v_mul_f64 v[68:69], v[68:69], s[44:45]
	v_fma_f64 v[64:65], v[64:65], s[16:17], -v[127:128]
	v_add_f64 v[32:33], v[70:71], v[32:33]
	v_mul_f64 v[89:90], v[50:51], s[38:39]
	v_add_f64 v[177:178], v[183:184], v[177:178]
	v_fma_f64 v[183:184], v[46:47], s[36:37], v[187:188]
	v_fma_f64 v[213:214], v[52:53], s[50:51], v[205:206]
	v_mul_f64 v[127:128], v[48:49], s[16:17]
	v_fma_f64 v[109:110], v[44:45], s[52:53], v[115:116]
	v_fma_f64 v[115:116], v[6:7], s[34:35], -v[135:136]
	v_add_f64 v[40:41], v[40:41], v[101:102]
	v_mul_f64 v[101:102], v[66:67], s[36:37]
	v_add_f64 v[34:35], v[105:106], v[34:35]
	v_fma_f64 v[105:106], v[62:63], s[46:47], v[91:92]
	v_add_f64 v[30:31], v[97:98], v[30:31]
	v_fma_f64 v[91:92], v[62:63], s[38:39], v[91:92]
	v_mul_f64 v[66:67], v[66:67], s[16:17]
	v_add_f64 v[26:27], v[87:88], v[26:27]
	v_fma_f64 v[62:63], v[62:63], s[26:27], v[129:130]
	v_fma_f64 v[70:71], v[56:57], s[36:37], v[123:124]
	v_add_f64 v[38:39], v[125:126], v[38:39]
	v_mul_f64 v[125:126], v[60:61], s[22:23]
	v_mul_f64 v[60:61], v[60:61], s[14:15]
	v_fma_f64 v[123:124], v[56:57], s[36:37], -v[123:124]
	v_mul_f64 v[97:98], v[50:51], s[44:45]
	v_fma_f64 v[135:136], v[52:53], s[28:29], v[205:206]
	v_add_f64 v[157:158], v[171:172], v[157:158]
	v_fma_f64 v[133:134], v[46:47], s[36:37], -v[187:188]
	v_fma_f64 v[119:120], v[6:7], s[0:1], v[121:122]
	v_fma_f64 v[42:43], v[44:45], s[20:21], v[137:138]
	v_add_f64 v[153:154], v[219:220], v[153:154]
	v_fma_f64 v[93:94], v[6:7], s[24:25], v[89:90]
	v_fma_f64 v[87:88], v[44:45], s[46:47], v[117:118]
	v_fma_f64 v[129:130], v[58:59], s[50:51], v[101:102]
	v_add_f64 v[34:35], v[103:104], v[34:35]
	v_mul_f64 v[103:104], v[54:55], s[0:1]
	v_add_f64 v[36:37], v[105:106], v[36:37]
	v_add_f64 v[30:31], v[95:96], v[30:31]
	v_fma_f64 v[95:96], v[56:57], s[16:17], v[68:69]
	v_add_f64 v[28:29], v[91:92], v[28:29]
	v_fma_f64 v[91:92], v[58:59], s[26:27], v[66:67]
	v_mul_f64 v[54:55], v[54:55], s[18:19]
	v_fma_f64 v[68:69], v[56:57], s[16:17], -v[68:69]
	v_fma_f64 v[66:67], v[58:59], s[44:45], v[66:67]
	v_fma_f64 v[101:102], v[58:59], s[28:29], v[101:102]
	v_add_f64 v[26:27], v[64:65], v[26:27]
	v_add_f64 v[32:33], v[62:63], v[32:33]
	v_fma_f64 v[56:57], v[56:57], s[34:35], -v[139:140]
	v_fma_f64 v[58:59], v[58:59], s[8:9], v[207:208]
	v_add_f64 v[62:63], v[70:71], v[111:112]
	v_fma_f64 v[111:112], v[46:47], s[0:1], v[125:126]
	v_mul_f64 v[139:140], v[50:51], s[14:15]
	v_mul_f64 v[50:51], v[50:51], s[30:31]
	v_add_f64 v[40:41], v[123:124], v[40:41]
	v_add_f64 v[165:166], v[167:168], v[165:166]
	;; [unrolled: 1-line block ×3, first 2 shown]
	v_mul_f64 v[159:160], v[48:49], s[18:19]
	v_fma_f64 v[129:130], v[52:53], s[20:21], v[103:104]
	v_mul_f64 v[48:49], v[48:49], s[4:5]
	v_fma_f64 v[103:104], v[52:53], s[22:23], v[103:104]
	v_add_f64 v[34:35], v[95:96], v[34:35]
	v_add_f64 v[99:100], v[183:184], v[169:170]
	;; [unrolled: 1-line block ×3, first 2 shown]
	v_fma_f64 v[91:92], v[46:47], s[18:19], v[60:61]
	v_fma_f64 v[95:96], v[52:53], s[40:41], v[54:55]
	v_add_f64 v[30:31], v[68:69], v[30:31]
	v_add_f64 v[28:29], v[66:67], v[28:29]
	v_fma_f64 v[60:61], v[46:47], s[18:19], -v[60:61]
	v_fma_f64 v[54:55], v[52:53], s[14:15], v[54:55]
	v_add_f64 v[38:39], v[101:102], v[38:39]
	v_fma_f64 v[101:102], v[46:47], s[0:1], -v[125:126]
	v_add_f64 v[26:27], v[56:57], v[26:27]
	v_add_f64 v[32:33], v[58:59], v[32:33]
	v_fma_f64 v[46:47], v[46:47], s[24:25], -v[193:194]
	v_fma_f64 v[52:53], v[52:53], s[46:47], v[149:150]
	v_add_f64 v[167:168], v[213:214], v[177:178]
	v_fma_f64 v[105:106], v[6:7], s[16:17], v[97:98]
	v_fma_f64 v[64:65], v[44:45], s[26:27], v[127:128]
	v_add_f64 v[68:69], v[135:136], v[107:108]
	v_add_f64 v[62:63], v[111:112], v[62:63]
	;; [unrolled: 1-line block ×3, first 2 shown]
	v_fma_f64 v[70:71], v[6:7], s[18:19], v[139:140]
	v_fma_f64 v[107:108], v[44:45], s[40:41], v[159:160]
	v_fma_f64 v[58:59], v[6:7], s[16:17], -v[97:98]
	v_fma_f64 v[97:98], v[44:45], s[44:45], v[127:128]
	v_add_f64 v[91:92], v[91:92], v[34:35]
	v_add_f64 v[95:96], v[95:96], v[36:37]
	v_fma_f64 v[125:126], v[6:7], s[4:5], v[50:51]
	v_fma_f64 v[127:128], v[44:45], s[6:7], v[48:49]
	v_add_f64 v[56:57], v[133:134], v[157:158]
	v_add_f64 v[30:31], v[60:61], v[30:31]
	v_add_f64 v[129:130], v[54:55], v[28:29]
	v_fma_f64 v[50:51], v[6:7], s[4:5], -v[50:51]
	v_fma_f64 v[133:134], v[44:45], s[30:31], v[48:49]
	v_add_f64 v[101:102], v[101:102], v[40:41]
	v_add_f64 v[103:104], v[103:104], v[38:39]
	v_fma_f64 v[111:112], v[6:7], s[18:19], -v[139:140]
	v_fma_f64 v[123:124], v[44:45], s[14:15], v[159:160]
	v_fma_f64 v[89:90], v[6:7], s[24:25], -v[89:90]
	v_fma_f64 v[117:118], v[44:45], s[38:39], v[117:118]
	v_add_f64 v[26:27], v[46:47], v[26:27]
	v_add_f64 v[135:136], v[52:53], v[32:33]
	v_fma_f64 v[6:7], v[6:7], s[0:1], -v[121:122]
	v_fma_f64 v[121:122], v[44:45], s[22:23], v[137:138]
	v_fma_f64 v[22:23], v[44:45], s[8:9], v[22:23]
	v_fma_f64 v[113:114], v[44:45], s[28:29], v[113:114]
	v_add_f64 v[32:33], v[119:120], v[145:146]
	v_add_f64 v[34:35], v[42:43], v[151:152]
	;; [unrolled: 1-line block ×24, first 2 shown]
	v_mad_u32_u24 v20, 0x110, v74, v227
	v_lshl_add_u32 v236, v84, 4, v227
	v_lshl_add_u32 v234, v82, 4, v227
	;; [unrolled: 1-line block ×4, first 2 shown]
	ds_write_b128 v20, v[8:11]
	ds_write_b128 v20, v[0:3] offset:16
	ds_write_b128 v20, v[12:15] offset:32
	;; [unrolled: 1-line block ×16, first 2 shown]
	s_waitcnt lgkmcnt(0)
	s_barrier
	buffer_gl0_inv
	ds_read_b128 v[0:3], v228
	ds_read_b128 v[36:39], v230 offset:9248
	v_lshl_add_u32 v237, v86, 4, v227
	ds_read_b128 v[48:51], v230 offset:10336
	ds_read_b128 v[44:47], v230 offset:11424
	ds_read_b128 v[12:15], v236
	ds_read_b128 v[8:11], v235
	v_lshl_add_u32 v232, v80, 4, v227
	v_lshl_add_u32 v231, v79, 4, v227
	ds_read_b128 v[60:63], v230 offset:12512
	ds_read_b128 v[52:55], v230 offset:13600
	ds_read_b128 v[24:27], v234
	ds_read_b128 v[16:19], v233
	ds_read_b128 v[64:67], v230 offset:14688
	ds_read_b128 v[56:59], v230 offset:15776
	ds_read_b128 v[28:31], v232
	ds_read_b128 v[20:23], v231
	;; [unrolled: 1-line block ×3, first 2 shown]
	ds_read_b128 v[68:71], v230 offset:16864
	v_cmp_gt_u32_e64 s0, 34, v74
                                        ; implicit-def: $vgpr42_vgpr43
	s_and_saveexec_b32 s1, s0
	s_cbranch_execz .LBB0_14
; %bb.13:
	v_add3_u32 v4, 0, v85, v75
	ds_read_b128 v[4:7], v4
	ds_read_b128 v[40:43], v230 offset:17952
.LBB0_14:
	s_or_b32 exec_lo, exec_lo, s1
	v_and_b32_e32 v87, 0xff, v74
	v_and_b32_e32 v89, 0xff, v84
	;; [unrolled: 1-line block ×3, first 2 shown]
	v_mov_b32_e32 v106, 0xf0f1
	v_mul_lo_u16 v90, 0xf1, v87
	v_mul_lo_u16 v89, 0xf1, v89
	;; [unrolled: 1-line block ×3, first 2 shown]
	v_mul_u32_u24_sdwa v91, v83, v106 dst_sel:DWORD dst_unused:UNUSED_PAD src0_sel:WORD_0 src1_sel:DWORD
	v_mov_b32_e32 v87, 4
	v_lshrrev_b16 v126, 12, v90
	v_lshrrev_b16 v128, 12, v89
	v_lshrrev_b16 v127, 12, v88
	v_mul_u32_u24_sdwa v88, v82, v106 dst_sel:DWORD dst_unused:UNUSED_PAD src0_sel:WORD_0 src1_sel:DWORD
	v_mul_u32_u24_sdwa v90, v81, v106 dst_sel:DWORD dst_unused:UNUSED_PAD src0_sel:WORD_0 src1_sel:DWORD
	v_mul_lo_u16 v89, v126, 17
	v_mul_lo_u16 v93, v128, 17
	v_lshrrev_b32_e32 v142, 20, v91
	v_mul_u32_u24_sdwa v98, v80, v106 dst_sel:DWORD dst_unused:UNUSED_PAD src0_sel:WORD_0 src1_sel:DWORD
	v_mul_u32_u24_sdwa v99, v79, v106 dst_sel:DWORD dst_unused:UNUSED_PAD src0_sel:WORD_0 src1_sel:DWORD
	v_sub_nc_u16 v89, v74, v89
	v_lshrrev_b32_e32 v143, 20, v88
	v_sub_nc_u16 v88, v84, v93
	v_lshrrev_b32_e32 v146, 20, v90
	v_lshrrev_b32_e32 v148, 20, v98
	v_lshlrev_b32_sdwa v144, v87, v89 dst_sel:DWORD dst_unused:UNUSED_PAD src0_sel:DWORD src1_sel:BYTE_0
	v_mul_lo_u16 v89, v142, 17
	v_lshlrev_b32_sdwa v147, v87, v88 dst_sel:DWORD dst_unused:UNUSED_PAD src0_sel:DWORD src1_sel:BYTE_0
	v_mul_lo_u16 v98, v146, 17
	v_lshrrev_b32_e32 v149, 20, v99
	v_mul_lo_u16 v92, v127, 17
	v_sub_nc_u16 v88, v83, v89
	v_mul_lo_u16 v89, v143, 17
	v_mul_lo_u16 v99, v148, 17
	;; [unrolled: 1-line block ×3, first 2 shown]
	v_sub_nc_u16 v92, v86, v92
	v_lshlrev_b32_sdwa v150, v87, v88 dst_sel:DWORD dst_unused:UNUSED_PAD src0_sel:DWORD src1_sel:WORD_0
	v_sub_nc_u16 v88, v82, v89
	v_sub_nc_u16 v89, v81, v98
	;; [unrolled: 1-line block ×3, first 2 shown]
	v_lshlrev_b32_sdwa v145, v87, v92 dst_sel:DWORD dst_unused:UNUSED_PAD src0_sel:DWORD src1_sel:BYTE_0
	s_clause 0x1
	global_load_dwordx4 v[90:93], v144, s[12:13]
	global_load_dwordx4 v[94:97], v145, s[12:13]
	v_lshlrev_b32_sdwa v151, v87, v88 dst_sel:DWORD dst_unused:UNUSED_PAD src0_sel:DWORD src1_sel:WORD_0
	v_sub_nc_u16 v88, v79, v107
	v_lshlrev_b32_sdwa v152, v87, v89 dst_sel:DWORD dst_unused:UNUSED_PAD src0_sel:DWORD src1_sel:WORD_0
	v_mul_u32_u24_sdwa v89, v78, v106 dst_sel:DWORD dst_unused:UNUSED_PAD src0_sel:WORD_0 src1_sel:DWORD
	s_clause 0x1
	global_load_dwordx4 v[98:101], v147, s[12:13]
	global_load_dwordx4 v[102:105], v150, s[12:13]
	v_lshlrev_b32_sdwa v153, v87, v108 dst_sel:DWORD dst_unused:UNUSED_PAD src0_sel:DWORD src1_sel:WORD_0
	v_lshlrev_b32_sdwa v154, v87, v88 dst_sel:DWORD dst_unused:UNUSED_PAD src0_sel:DWORD src1_sel:WORD_0
	global_load_dwordx4 v[106:109], v151, s[12:13]
	v_lshrrev_b32_e32 v88, 20, v89
	s_clause 0x1
	global_load_dwordx4 v[110:113], v152, s[12:13]
	global_load_dwordx4 v[114:117], v153, s[12:13]
	v_and_b32_e32 v155, 0xffff, v126
	global_load_dwordx4 v[118:121], v154, s[12:13]
	v_and_b32_e32 v156, 0xffff, v127
	v_mul_lo_u16 v89, v88, 17
	v_and_b32_e32 v157, 0xffff, v128
	v_mad_u32_u24 v155, 0x220, v155, 0
	v_mad_u32_u24 v142, 0x220, v142, 0
	;; [unrolled: 1-line block ×3, first 2 shown]
	v_sub_nc_u16 v89, v78, v89
	v_mad_u32_u24 v143, 0x220, v143, 0
	v_mad_u32_u24 v146, 0x220, v146, 0
	v_mad_u32_u24 v148, 0x220, v148, 0
	v_and_b32_e32 v89, 0xffff, v89
	v_lshlrev_b32_e32 v122, 4, v89
	global_load_dwordx4 v[122:125], v122, s[12:13]
	s_waitcnt vmcnt(0) lgkmcnt(0)
	s_barrier
	buffer_gl0_inv
	v_mul_f64 v[126:127], v[38:39], v[92:93]
	v_mul_f64 v[92:93], v[36:37], v[92:93]
	;; [unrolled: 1-line block ×16, first 2 shown]
	v_fma_f64 v[36:37], v[36:37], v[90:91], v[126:127]
	v_fma_f64 v[38:39], v[38:39], v[90:91], -v[92:93]
	v_fma_f64 v[48:49], v[48:49], v[94:95], v[128:129]
	v_fma_f64 v[50:51], v[50:51], v[94:95], -v[96:97]
	;; [unrolled: 2-line block ×6, first 2 shown]
	v_mul_f64 v[102:103], v[42:43], v[124:125]
	v_mul_f64 v[104:105], v[40:41], v[124:125]
	v_fma_f64 v[98:99], v[56:57], v[114:115], v[138:139]
	v_fma_f64 v[100:101], v[58:59], v[114:115], -v[116:117]
	v_fma_f64 v[68:69], v[68:69], v[118:119], v[140:141]
	v_fma_f64 v[70:71], v[70:71], v[118:119], -v[120:121]
	v_mad_u32_u24 v107, 0x220, v157, 0
	v_mad_u32_u24 v106, 0x220, v149, 0
	v_add3_u32 v108, v155, v144, v75
	v_add_f64 v[36:37], v[0:1], -v[36:37]
	v_add_f64 v[38:39], v[2:3], -v[38:39]
	;; [unrolled: 1-line block ×4, first 2 shown]
	v_add3_u32 v109, v156, v145, v75
	v_add_f64 v[48:49], v[12:13], -v[90:91]
	v_add_f64 v[50:51], v[14:15], -v[92:93]
	;; [unrolled: 1-line block ×8, first 2 shown]
	v_fma_f64 v[90:91], v[40:41], v[122:123], v[102:103]
	v_fma_f64 v[92:93], v[42:43], v[122:123], -v[104:105]
	v_add_f64 v[64:65], v[28:29], -v[98:99]
	v_add_f64 v[66:67], v[30:31], -v[100:101]
	;; [unrolled: 1-line block ×4, first 2 shown]
	v_add3_u32 v94, v107, v147, v75
	v_add3_u32 v95, v142, v150, v75
	;; [unrolled: 1-line block ×3, first 2 shown]
	v_fma_f64 v[40:41], v[0:1], 2.0, -v[36:37]
	v_fma_f64 v[42:43], v[2:3], 2.0, -v[38:39]
	;; [unrolled: 1-line block ×4, first 2 shown]
	v_add3_u32 v97, v146, v152, v75
	v_fma_f64 v[12:13], v[12:13], 2.0, -v[48:49]
	v_fma_f64 v[14:15], v[14:15], 2.0, -v[50:51]
	;; [unrolled: 1-line block ×8, first 2 shown]
	v_add_f64 v[0:1], v[4:5], -v[90:91]
	v_add_f64 v[2:3], v[6:7], -v[92:93]
	v_fma_f64 v[28:29], v[28:29], 2.0, -v[64:65]
	v_fma_f64 v[30:31], v[30:31], 2.0, -v[66:67]
	;; [unrolled: 1-line block ×4, first 2 shown]
	v_add3_u32 v90, v148, v153, v75
	v_add3_u32 v91, v106, v154, v75
	ds_write_b128 v108, v[36:39] offset:272
	ds_write_b128 v108, v[40:43]
	ds_write_b128 v109, v[32:35]
	ds_write_b128 v109, v[44:47] offset:272
	ds_write_b128 v94, v[12:15]
	ds_write_b128 v94, v[48:51] offset:272
	;; [unrolled: 2-line block ×7, first 2 shown]
	s_and_saveexec_b32 s1, s0
	s_cbranch_execz .LBB0_16
; %bb.15:
	v_fma_f64 v[6:7], v[6:7], 2.0, -v[2:3]
	v_fma_f64 v[4:5], v[4:5], 2.0, -v[0:1]
	v_mul_lo_u16 v8, v88, 34
	v_lshl_add_u32 v9, v89, 4, 0
	v_lshlrev_b32_sdwa v8, v87, v8 dst_sel:DWORD dst_unused:UNUSED_PAD src0_sel:DWORD src1_sel:WORD_0
	v_add3_u32 v8, v9, v8, v75
	ds_write_b128 v8, v[4:7]
	ds_write_b128 v8, v[0:3] offset:272
.LBB0_16:
	s_or_b32 exec_lo, exec_lo, s1
	v_subrev_nc_u32_e32 v88, 34, v74
	v_mov_b32_e32 v90, 0
	s_waitcnt lgkmcnt(0)
	s_barrier
	buffer_gl0_inv
	v_cndmask_b32_e64 v4, v88, v74, s0
	v_add3_u32 v85, 0, v85, v75
	s_mov_b32 s44, 0x5d8e7cdc
	s_mov_b32 s42, 0x2a9d6da3
	;; [unrolled: 1-line block ×3, first 2 shown]
	v_lshlrev_b32_e32 v89, 4, v4
	s_mov_b32 s26, 0xeb564b22
	s_mov_b32 s6, 0x923c349f
	;; [unrolled: 1-line block ×4, first 2 shown]
	v_lshlrev_b64 v[4:5], 4, v[89:90]
	s_mov_b32 s50, 0xacd6c6b4
	s_mov_b32 s45, 0xbfd71e95
	;; [unrolled: 1-line block ×5, first 2 shown]
	v_add_co_u32 v8, s1, s12, v4
	v_add_co_ci_u32_e64 v9, s1, s13, v5, s1
	s_mov_b32 s7, 0xbfeec746
	s_mov_b32 s19, 0xbfe9895b
	;; [unrolled: 1-line block ×3, first 2 shown]
	s_clause 0x5
	global_load_dwordx4 v[12:15], v[8:9], off offset:272
	global_load_dwordx4 v[16:19], v[8:9], off offset:288
	;; [unrolled: 1-line block ×6, first 2 shown]
	ds_read_b128 v[36:39], v237
	ds_read_b128 v[4:7], v230 offset:17408
	ds_read_b128 v[40:43], v236
	ds_read_b128 v[44:47], v235
	s_mov_b32 s51, 0xbfc7851a
	s_mov_b32 s52, 0x7faef3
	;; [unrolled: 1-line block ×29, first 2 shown]
	v_cmp_lt_u32_e64 s1, 33, v74
	s_waitcnt vmcnt(5) lgkmcnt(3)
	v_mul_f64 v[10:11], v[38:39], v[14:15]
	v_mul_f64 v[14:15], v[36:37], v[14:15]
	v_fma_f64 v[10:11], v[36:37], v[12:13], v[10:11]
	v_fma_f64 v[12:13], v[38:39], v[12:13], -v[14:15]
	s_waitcnt vmcnt(4) lgkmcnt(1)
	v_mul_f64 v[14:15], v[42:43], v[18:19]
	v_mul_f64 v[18:19], v[40:41], v[18:19]
	v_fma_f64 v[36:37], v[40:41], v[16:17], v[14:15]
	v_fma_f64 v[38:39], v[42:43], v[16:17], -v[18:19]
	s_waitcnt vmcnt(3) lgkmcnt(0)
	v_mul_f64 v[18:19], v[46:47], v[22:23]
	v_mul_f64 v[22:23], v[44:45], v[22:23]
	ds_read_b128 v[14:17], v234
	v_fma_f64 v[40:41], v[44:45], v[20:21], v[18:19]
	v_fma_f64 v[42:43], v[46:47], v[20:21], -v[22:23]
	ds_read_b128 v[18:21], v233
	s_waitcnt vmcnt(2) lgkmcnt(1)
	v_mul_f64 v[22:23], v[16:17], v[26:27]
	v_mul_f64 v[26:27], v[14:15], v[26:27]
	v_fma_f64 v[44:45], v[14:15], v[24:25], v[22:23]
	v_fma_f64 v[46:47], v[16:17], v[24:25], -v[26:27]
	s_waitcnt vmcnt(1) lgkmcnt(0)
	v_mul_f64 v[22:23], v[20:21], v[30:31]
	v_mul_f64 v[24:25], v[18:19], v[30:31]
	ds_read_b128 v[14:17], v232
	v_fma_f64 v[48:49], v[18:19], v[28:29], v[22:23]
	v_fma_f64 v[50:51], v[20:21], v[28:29], -v[24:25]
	ds_read_b128 v[18:21], v231
	s_waitcnt vmcnt(0) lgkmcnt(1)
	v_mul_f64 v[22:23], v[16:17], v[34:35]
	v_mul_f64 v[24:25], v[14:15], v[34:35]
	v_fma_f64 v[52:53], v[14:15], v[32:33], v[22:23]
	v_fma_f64 v[54:55], v[16:17], v[32:33], -v[24:25]
	s_clause 0x1
	global_load_dwordx4 v[14:17], v[8:9], off offset:368
	global_load_dwordx4 v[22:25], v[8:9], off offset:384
	s_waitcnt vmcnt(1) lgkmcnt(0)
	v_mul_f64 v[26:27], v[20:21], v[16:17]
	v_mul_f64 v[16:17], v[18:19], v[16:17]
	v_fma_f64 v[56:57], v[18:19], v[14:15], v[26:27]
	v_fma_f64 v[58:59], v[20:21], v[14:15], -v[16:17]
	ds_read_b128 v[14:17], v85
	s_waitcnt vmcnt(0) lgkmcnt(0)
	v_mul_f64 v[18:19], v[16:17], v[24:25]
	v_fma_f64 v[60:61], v[14:15], v[22:23], v[18:19]
	v_mul_f64 v[14:15], v[14:15], v[24:25]
	v_fma_f64 v[62:63], v[16:17], v[22:23], -v[14:15]
	s_clause 0x1
	global_load_dwordx4 v[14:17], v[8:9], off offset:400
	global_load_dwordx4 v[18:21], v[8:9], off offset:416
	ds_read_b128 v[22:25], v230 offset:9792
	ds_read_b128 v[64:67], v228
	s_waitcnt lgkmcnt(0)
	v_add_f64 v[139:140], v[64:65], v[10:11]
	v_add_f64 v[141:142], v[66:67], v[12:13]
	s_waitcnt vmcnt(1)
	v_mul_f64 v[26:27], v[24:25], v[16:17]
	v_mul_f64 v[16:17], v[22:23], v[16:17]
	v_fma_f64 v[68:69], v[22:23], v[14:15], v[26:27]
	v_fma_f64 v[70:71], v[24:25], v[14:15], -v[16:17]
	ds_read_b128 v[14:17], v230 offset:10880
	ds_read_b128 v[22:25], v230 offset:11968
	s_waitcnt vmcnt(0) lgkmcnt(1)
	v_mul_f64 v[26:27], v[16:17], v[20:21]
	v_add_f64 v[219:220], v[62:63], -v[70:71]
	v_add_f64 v[221:222], v[62:63], v[70:71]
	v_fma_f64 v[91:92], v[14:15], v[18:19], v[26:27]
	v_mul_f64 v[14:15], v[14:15], v[20:21]
	v_mul_f64 v[242:243], v[219:220], s[50:51]
	;; [unrolled: 1-line block ×3, first 2 shown]
	v_fma_f64 v[93:94], v[16:17], v[18:19], -v[14:15]
	s_clause 0x1
	global_load_dwordx4 v[14:17], v[8:9], off offset:432
	global_load_dwordx4 v[18:21], v[8:9], off offset:448
	v_add_f64 v[207:208], v[58:59], -v[93:94]
	v_add_f64 v[209:210], v[58:59], v[93:94]
	v_mul_f64 v[238:239], v[207:208], s[24:25]
	v_mul_f64 v[240:241], v[209:210], s[28:29]
	s_waitcnt vmcnt(1) lgkmcnt(0)
	v_mul_f64 v[26:27], v[24:25], v[16:17]
	v_mul_f64 v[16:17], v[22:23], v[16:17]
	v_fma_f64 v[95:96], v[22:23], v[14:15], v[26:27]
	v_fma_f64 v[97:98], v[24:25], v[14:15], -v[16:17]
	ds_read_b128 v[14:17], v230 offset:13056
	ds_read_b128 v[22:25], v230 offset:14144
	s_waitcnt vmcnt(0) lgkmcnt(1)
	v_mul_f64 v[26:27], v[16:17], v[20:21]
	v_add_f64 v[195:196], v[54:55], -v[97:98]
	v_add_f64 v[197:198], v[54:55], v[97:98]
	v_fma_f64 v[99:100], v[14:15], v[18:19], v[26:27]
	v_mul_f64 v[14:15], v[14:15], v[20:21]
	v_mul_f64 v[223:224], v[195:196], s[18:19]
	;; [unrolled: 1-line block ×3, first 2 shown]
	v_fma_f64 v[101:102], v[16:17], v[18:19], -v[14:15]
	s_clause 0x1
	global_load_dwordx4 v[14:17], v[8:9], off offset:464
	global_load_dwordx4 v[18:21], v[8:9], off offset:480
	v_add_f64 v[185:186], v[50:51], v[101:102]
	v_mul_f64 v[213:214], v[185:186], s[14:15]
	s_waitcnt vmcnt(1) lgkmcnt(0)
	v_mul_f64 v[26:27], v[24:25], v[16:17]
	v_mul_f64 v[16:17], v[22:23], v[16:17]
	v_fma_f64 v[103:104], v[22:23], v[14:15], v[26:27]
	v_fma_f64 v[105:106], v[24:25], v[14:15], -v[16:17]
	ds_read_b128 v[14:17], v230 offset:15232
	ds_read_b128 v[22:25], v230 offset:16320
	s_waitcnt vmcnt(0) lgkmcnt(1)
	v_mul_f64 v[26:27], v[16:17], v[20:21]
	v_fma_f64 v[107:108], v[14:15], v[18:19], v[26:27]
	v_mul_f64 v[14:15], v[14:15], v[20:21]
	v_fma_f64 v[109:110], v[16:17], v[18:19], -v[14:15]
	s_clause 0x1
	global_load_dwordx4 v[14:17], v[8:9], off offset:496
	global_load_dwordx4 v[18:21], v[8:9], off offset:512
	s_waitcnt vmcnt(0) lgkmcnt(0)
	s_barrier
	buffer_gl0_inv
	v_mul_f64 v[8:9], v[24:25], v[16:17]
	v_fma_f64 v[111:112], v[22:23], v[14:15], v[8:9]
	v_mul_f64 v[8:9], v[22:23], v[16:17]
	v_fma_f64 v[113:114], v[24:25], v[14:15], -v[8:9]
	v_mul_f64 v[8:9], v[6:7], v[20:21]
	v_fma_f64 v[115:116], v[4:5], v[18:19], v[8:9]
	v_mul_f64 v[4:5], v[4:5], v[20:21]
	v_add_f64 v[24:25], v[10:11], v[115:116]
	v_fma_f64 v[117:118], v[6:7], v[18:19], -v[4:5]
	v_add_f64 v[133:134], v[10:11], -v[115:116]
	v_add_f64 v[4:5], v[12:13], -v[117:118]
	v_mul_f64 v[6:7], v[4:5], s[44:45]
	v_mul_f64 v[8:9], v[4:5], s[42:43]
	;; [unrolled: 1-line block ×8, first 2 shown]
	v_fma_f64 v[26:27], v[24:25], s[22:23], v[6:7]
	v_fma_f64 v[6:7], v[24:25], s[22:23], -v[6:7]
	v_fma_f64 v[28:29], v[24:25], s[16:17], v[8:9]
	v_fma_f64 v[8:9], v[24:25], s[16:17], -v[8:9]
	;; [unrolled: 2-line block ×3, first 2 shown]
	v_fma_f64 v[34:35], v[24:25], s[4:5], v[16:17]
	v_fma_f64 v[137:138], v[24:25], s[52:53], v[4:5]
	v_fma_f64 v[147:148], v[24:25], s[52:53], -v[4:5]
	v_add_f64 v[4:5], v[12:13], v[117:118]
	v_fma_f64 v[119:120], v[24:25], s[4:5], -v[16:17]
	v_fma_f64 v[121:122], v[24:25], s[14:15], v[18:19]
	v_fma_f64 v[123:124], v[24:25], s[14:15], -v[18:19]
	v_fma_f64 v[125:126], v[24:25], s[20:21], v[20:21]
	;; [unrolled: 2-line block ×3, first 2 shown]
	v_fma_f64 v[135:136], v[24:25], s[28:29], -v[22:23]
	v_add_f64 v[10:11], v[64:65], v[26:27]
	v_add_f64 v[6:7], v[64:65], v[6:7]
	;; [unrolled: 1-line block ×4, first 2 shown]
	v_mul_f64 v[14:15], v[4:5], s[22:23]
	v_mul_f64 v[16:17], v[4:5], s[16:17]
	;; [unrolled: 1-line block ×8, first 2 shown]
	v_add_f64 v[30:31], v[64:65], v[119:120]
	v_add_f64 v[163:164], v[64:65], v[121:122]
	;; [unrolled: 1-line block ×4, first 2 shown]
	v_fma_f64 v[143:144], v[133:134], s[38:39], v[14:15]
	v_fma_f64 v[14:15], v[133:134], s[44:45], v[14:15]
	;; [unrolled: 1-line block ×16, first 2 shown]
	v_add_f64 v[133:134], v[64:65], v[129:130]
	v_add_f64 v[129:130], v[64:65], v[135:136]
	v_add_f64 v[135:136], v[38:39], -v[113:114]
	v_add_f64 v[18:19], v[64:65], v[28:29]
	v_add_f64 v[22:23], v[64:65], v[32:33]
	v_mul_f64 v[181:182], v[137:138], s[16:17]
	v_add_f64 v[183:184], v[66:67], v[143:144]
	v_add_f64 v[4:5], v[66:67], v[14:15]
	;; [unrolled: 1-line block ×11, first 2 shown]
	v_add_f64 v[159:160], v[42:43], -v[109:110]
	v_add_f64 v[64:65], v[64:65], v[147:148]
	v_add_f64 v[147:148], v[40:41], v[107:108]
	;; [unrolled: 1-line block ×5, first 2 shown]
	v_add_f64 v[125:126], v[36:37], -v[111:112]
	v_mul_f64 v[179:180], v[135:136], s[42:43]
	v_add_f64 v[165:166], v[42:43], v[109:110]
	v_add_f64 v[12:13], v[66:67], v[149:150]
	v_add_f64 v[149:150], v[66:67], v[167:168]
	v_add_f64 v[131:132], v[66:67], v[171:172]
	v_add_f64 v[171:172], v[46:47], -v[105:106]
	v_add_f64 v[143:144], v[66:67], v[169:170]
	v_add_f64 v[127:128], v[66:67], v[173:174]
	;; [unrolled: 1-line block ×7, first 2 shown]
	v_mul_f64 v[187:188], v[159:160], s[40:41]
	v_fma_f64 v[8:9], v[123:124], s[16:17], v[179:180]
	v_mul_f64 v[189:190], v[165:166], s[8:9]
	v_fma_f64 v[179:180], v[123:124], s[16:17], -v[179:180]
	v_mul_f64 v[203:204], v[171:172], s[26:27]
	v_mul_f64 v[205:206], v[173:174], s[4:5]
	v_add_f64 v[36:37], v[36:37], v[40:41]
	v_add_f64 v[38:39], v[38:39], v[42:43]
	v_fma_f64 v[153:154], v[147:148], s[8:9], v[187:188]
	v_add_f64 v[8:9], v[8:9], v[10:11]
	v_fma_f64 v[10:11], v[125:126], s[36:37], v[181:182]
	;; [unrolled: 2-line block ×3, first 2 shown]
	v_add_f64 v[36:37], v[36:37], v[44:45]
	v_add_f64 v[38:39], v[38:39], v[46:47]
	v_mul_f64 v[46:47], v[137:138], s[8:9]
	v_add_f64 v[8:9], v[153:154], v[8:9]
	v_add_f64 v[153:154], v[40:41], -v[107:108]
	v_add_f64 v[10:11], v[10:11], v[183:184]
	v_add_f64 v[183:184], v[50:51], -v[101:102]
	v_add_f64 v[4:5], v[179:180], v[4:5]
	v_fma_f64 v[179:180], v[147:148], s[8:9], -v[187:188]
	v_add_f64 v[36:37], v[36:37], v[48:49]
	v_add_f64 v[38:39], v[38:39], v[50:51]
	v_fma_f64 v[42:43], v[125:126], s[40:41], v[46:47]
	v_fma_f64 v[46:47], v[125:126], s[34:35], v[46:47]
	;; [unrolled: 1-line block ×3, first 2 shown]
	v_mul_f64 v[211:212], v[183:184], s[6:7]
	v_add_f64 v[6:7], v[179:180], v[6:7]
	v_fma_f64 v[179:180], v[153:154], s[40:41], v[189:190]
	v_add_f64 v[36:37], v[36:37], v[52:53]
	v_add_f64 v[38:39], v[38:39], v[54:55]
	;; [unrolled: 1-line block ×9, first 2 shown]
	v_fma_f64 v[169:170], v[167:168], s[4:5], v[203:204]
	v_fma_f64 v[179:180], v[167:168], s[4:5], -v[203:204]
	v_add_f64 v[36:37], v[36:37], v[60:61]
	v_add_f64 v[38:39], v[38:39], v[62:63]
	;; [unrolled: 1-line block ×3, first 2 shown]
	v_add_f64 v[169:170], v[44:45], -v[103:104]
	v_add_f64 v[6:7], v[179:180], v[6:7]
	v_mul_f64 v[44:45], v[135:136], s[34:35]
	v_add_f64 v[36:37], v[36:37], v[68:69]
	v_add_f64 v[38:39], v[38:39], v[70:71]
	v_fma_f64 v[175:176], v[169:170], s[30:31], v[205:206]
	v_fma_f64 v[179:180], v[169:170], s[26:27], v[205:206]
	v_fma_f64 v[40:41], v[123:124], s[8:9], v[44:45]
	v_fma_f64 v[44:45], v[123:124], s[8:9], -v[44:45]
	v_add_f64 v[36:37], v[36:37], v[91:92]
	v_add_f64 v[38:39], v[38:39], v[93:94]
	;; [unrolled: 1-line block ×9, first 2 shown]
	v_fma_f64 v[177:178], v[175:176], s[14:15], v[211:212]
	v_fma_f64 v[179:180], v[175:176], s[14:15], -v[211:212]
	v_add_f64 v[36:37], v[36:37], v[99:100]
	v_add_f64 v[38:39], v[38:39], v[101:102]
	v_mul_f64 v[101:102], v[221:222], s[4:5]
	v_add_f64 v[8:9], v[177:178], v[8:9]
	v_add_f64 v[177:178], v[48:49], -v[99:100]
	v_add_f64 v[6:7], v[179:180], v[6:7]
	v_mul_f64 v[48:49], v[159:160], s[26:27]
	v_add_f64 v[36:37], v[36:37], v[103:104]
	v_add_f64 v[38:39], v[38:39], v[105:106]
	v_fma_f64 v[191:192], v[177:178], s[46:47], v[213:214]
	v_fma_f64 v[179:180], v[177:178], s[6:7], v[213:214]
	;; [unrolled: 1-line block ×3, first 2 shown]
	v_fma_f64 v[48:49], v[147:148], s[4:5], -v[48:49]
	v_add_f64 v[36:37], v[36:37], v[107:108]
	v_add_f64 v[38:39], v[38:39], v[109:110]
	;; [unrolled: 1-line block ×6, first 2 shown]
	v_mul_f64 v[50:51], v[165:166], s[4:5]
	v_add_f64 v[44:45], v[48:49], v[44:45]
	v_add_f64 v[36:37], v[36:37], v[111:112]
	;; [unrolled: 1-line block ×3, first 2 shown]
	v_fma_f64 v[193:194], v[191:192], s[20:21], v[223:224]
	v_fma_f64 v[179:180], v[191:192], s[20:21], -v[223:224]
	v_fma_f64 v[48:49], v[153:154], s[26:27], v[50:51]
	v_add_f64 v[36:37], v[36:37], v[115:116]
	v_add_f64 v[38:39], v[38:39], v[117:118]
	;; [unrolled: 1-line block ×3, first 2 shown]
	v_add_f64 v[193:194], v[52:53], -v[95:96]
	v_add_f64 v[6:7], v[179:180], v[6:7]
	v_fma_f64 v[52:53], v[153:154], s[30:31], v[50:51]
	v_add_f64 v[46:47], v[48:49], v[46:47]
	v_fma_f64 v[199:200], v[193:194], s[48:49], v[225:226]
	v_fma_f64 v[179:180], v[193:194], s[18:19], v[225:226]
	v_add_f64 v[42:43], v[52:53], v[42:43]
	v_mul_f64 v[52:53], v[171:172], s[48:49]
	v_add_f64 v[10:11], v[199:200], v[10:11]
	v_add_f64 v[199:200], v[56:57], v[91:92]
	;; [unrolled: 1-line block ×3, first 2 shown]
	v_fma_f64 v[54:55], v[167:168], s[20:21], v[52:53]
	v_fma_f64 v[48:49], v[167:168], s[20:21], -v[52:53]
	v_mul_f64 v[52:53], v[135:136], s[38:39]
	v_fma_f64 v[201:202], v[199:200], s[28:29], v[238:239]
	v_fma_f64 v[179:180], v[199:200], s[28:29], -v[238:239]
	v_add_f64 v[40:41], v[54:55], v[40:41]
	v_mul_f64 v[54:55], v[173:174], s[20:21]
	v_add_f64 v[44:45], v[48:49], v[44:45]
	v_add_f64 v[8:9], v[201:202], v[8:9]
	v_add_f64 v[201:202], v[56:57], -v[91:92]
	v_add_f64 v[6:7], v[179:180], v[6:7]
	v_fma_f64 v[56:57], v[169:170], s[18:19], v[54:55]
	v_fma_f64 v[48:49], v[169:170], s[48:49], v[54:55]
	v_mul_f64 v[54:55], v[137:138], s[22:23]
	v_fma_f64 v[215:216], v[201:202], s[54:55], v[240:241]
	v_fma_f64 v[179:180], v[201:202], s[24:25], v[240:241]
	v_add_f64 v[42:43], v[56:57], v[42:43]
	v_mul_f64 v[56:57], v[183:184], s[44:45]
	v_add_f64 v[46:47], v[48:49], v[46:47]
	v_add_f64 v[10:11], v[215:216], v[10:11]
	;; [unrolled: 1-line block ×4, first 2 shown]
	v_fma_f64 v[58:59], v[175:176], s[22:23], v[56:57]
	v_fma_f64 v[48:49], v[175:176], s[22:23], -v[56:57]
	v_mul_f64 v[56:57], v[159:160], s[24:25]
	v_fma_f64 v[217:218], v[215:216], s[52:53], v[242:243]
	v_fma_f64 v[4:5], v[215:216], s[52:53], -v[242:243]
	v_add_f64 v[40:41], v[58:59], v[40:41]
	v_mul_f64 v[58:59], v[185:186], s[22:23]
	v_add_f64 v[44:45], v[48:49], v[44:45]
	v_add_f64 v[8:9], v[217:218], v[8:9]
	v_add_f64 v[217:218], v[60:61], -v[68:69]
	v_add_f64 v[4:5], v[4:5], v[6:7]
	v_fma_f64 v[60:61], v[177:178], s[38:39], v[58:59]
	v_fma_f64 v[48:49], v[177:178], s[44:45], v[58:59]
	;; [unrolled: 1-line block ×3, first 2 shown]
	v_fma_f64 v[56:57], v[147:148], s[28:29], -v[56:57]
	v_fma_f64 v[181:182], v[217:218], s[50:51], v[244:245]
	v_fma_f64 v[246:247], v[217:218], s[56:57], v[244:245]
	v_mul_f64 v[244:245], v[219:220], s[38:39]
	v_add_f64 v[42:43], v[60:61], v[42:43]
	v_mul_f64 v[60:61], v[195:196], s[50:51]
	v_add_f64 v[46:47], v[48:49], v[46:47]
	v_add_f64 v[6:7], v[181:182], v[179:180]
	v_mul_f64 v[179:180], v[135:136], s[26:27]
	v_add_f64 v[10:11], v[246:247], v[10:11]
	v_mul_f64 v[246:247], v[221:222], s[22:23]
	v_fma_f64 v[62:63], v[191:192], s[52:53], v[60:61]
	v_fma_f64 v[48:49], v[191:192], s[52:53], -v[60:61]
	v_fma_f64 v[181:182], v[123:124], s[4:5], v[179:180]
	v_fma_f64 v[179:180], v[123:124], s[4:5], -v[179:180]
	v_add_f64 v[40:41], v[62:63], v[40:41]
	v_mul_f64 v[62:63], v[197:198], s[52:53]
	v_add_f64 v[44:45], v[48:49], v[44:45]
	v_add_f64 v[18:19], v[181:182], v[18:19]
	v_mul_f64 v[181:182], v[137:138], s[4:5]
	v_add_f64 v[14:15], v[179:180], v[14:15]
	v_fma_f64 v[68:69], v[193:194], s[56:57], v[62:63]
	v_fma_f64 v[48:49], v[193:194], s[50:51], v[62:63]
	;; [unrolled: 1-line block ×5, first 2 shown]
	v_add_f64 v[42:43], v[68:69], v[42:43]
	v_mul_f64 v[68:69], v[207:208], s[36:37]
	v_add_f64 v[46:47], v[48:49], v[46:47]
	v_add_f64 v[16:17], v[187:188], v[16:17]
	v_mul_f64 v[187:188], v[159:160], s[18:19]
	v_add_f64 v[12:13], v[179:180], v[12:13]
	v_fma_f64 v[70:71], v[199:200], s[16:17], v[68:69]
	v_fma_f64 v[48:49], v[199:200], s[16:17], -v[68:69]
	v_fma_f64 v[189:190], v[147:148], s[20:21], v[187:188]
	v_fma_f64 v[179:180], v[147:148], s[20:21], -v[187:188]
	v_add_f64 v[40:41], v[70:71], v[40:41]
	v_mul_f64 v[70:71], v[209:210], s[16:17]
	v_add_f64 v[44:45], v[48:49], v[44:45]
	v_add_f64 v[18:19], v[189:190], v[18:19]
	v_mul_f64 v[189:190], v[165:166], s[20:21]
	v_add_f64 v[14:15], v[179:180], v[14:15]
	v_fma_f64 v[91:92], v[201:202], s[42:43], v[70:71]
	v_fma_f64 v[48:49], v[201:202], s[36:37], v[70:71]
	;; [unrolled: 1-line block ×4, first 2 shown]
	v_add_f64 v[42:43], v[91:92], v[42:43]
	v_mul_f64 v[91:92], v[219:220], s[6:7]
	v_add_f64 v[46:47], v[48:49], v[46:47]
	v_add_f64 v[16:17], v[203:204], v[16:17]
	v_mul_f64 v[203:204], v[171:172], s[50:51]
	v_add_f64 v[12:13], v[179:180], v[12:13]
	v_fma_f64 v[93:94], v[215:216], s[14:15], v[91:92]
	v_fma_f64 v[48:49], v[215:216], s[14:15], -v[91:92]
	v_fma_f64 v[205:206], v[167:168], s[52:53], v[203:204]
	v_fma_f64 v[179:180], v[167:168], s[52:53], -v[203:204]
	v_add_f64 v[40:41], v[93:94], v[40:41]
	v_mul_f64 v[93:94], v[221:222], s[14:15]
	v_add_f64 v[44:45], v[48:49], v[44:45]
	v_fma_f64 v[48:49], v[123:124], s[22:23], v[52:53]
	v_fma_f64 v[52:53], v[123:124], s[22:23], -v[52:53]
	v_add_f64 v[18:19], v[205:206], v[18:19]
	v_mul_f64 v[205:206], v[173:174], s[52:53]
	v_add_f64 v[14:15], v[179:180], v[14:15]
	v_fma_f64 v[50:51], v[217:218], s[6:7], v[93:94]
	v_fma_f64 v[95:96], v[217:218], s[46:47], v[93:94]
	v_add_f64 v[48:49], v[48:49], v[121:122]
	v_add_f64 v[52:53], v[52:53], v[64:65]
	v_fma_f64 v[211:212], v[169:170], s[56:57], v[205:206]
	v_fma_f64 v[179:180], v[169:170], s[50:51], v[205:206]
	v_add_f64 v[46:47], v[50:51], v[46:47]
	v_fma_f64 v[50:51], v[125:126], s[44:45], v[54:55]
	v_add_f64 v[48:49], v[58:59], v[48:49]
	v_mul_f64 v[58:59], v[165:166], s[28:29]
	v_add_f64 v[42:43], v[95:96], v[42:43]
	v_fma_f64 v[54:55], v[125:126], s[38:39], v[54:55]
	v_add_f64 v[52:53], v[56:57], v[52:53]
	v_add_f64 v[16:17], v[211:212], v[16:17]
	v_mul_f64 v[211:212], v[183:184], s[54:55]
	v_add_f64 v[12:13], v[179:180], v[12:13]
	v_add_f64 v[50:51], v[50:51], v[119:120]
	v_fma_f64 v[60:61], v[153:154], s[54:55], v[58:59]
	v_fma_f64 v[58:59], v[153:154], s[24:25], v[58:59]
	v_add_f64 v[54:55], v[54:55], v[66:67]
	v_fma_f64 v[213:214], v[175:176], s[28:29], v[211:212]
	v_fma_f64 v[179:180], v[175:176], s[28:29], -v[211:212]
	v_add_f64 v[50:51], v[60:61], v[50:51]
	v_mul_f64 v[60:61], v[171:172], s[36:37]
	v_add_f64 v[54:55], v[58:59], v[54:55]
	v_add_f64 v[18:19], v[213:214], v[18:19]
	v_mul_f64 v[213:214], v[185:186], s[28:29]
	v_add_f64 v[14:15], v[179:180], v[14:15]
	v_fma_f64 v[62:63], v[167:168], s[16:17], v[60:61]
	v_fma_f64 v[56:57], v[167:168], s[16:17], -v[60:61]
	v_fma_f64 v[223:224], v[177:178], s[24:25], v[213:214]
	v_fma_f64 v[179:180], v[177:178], s[54:55], v[213:214]
	v_add_f64 v[48:49], v[62:63], v[48:49]
	v_mul_f64 v[62:63], v[173:174], s[16:17]
	v_add_f64 v[52:53], v[56:57], v[52:53]
	v_add_f64 v[16:17], v[223:224], v[16:17]
	v_mul_f64 v[223:224], v[195:196], s[46:47]
	v_add_f64 v[12:13], v[179:180], v[12:13]
	v_fma_f64 v[68:69], v[169:170], s[42:43], v[62:63]
	v_fma_f64 v[58:59], v[169:170], s[36:37], v[62:63]
	;; [unrolled: 1-line block ×3, first 2 shown]
	v_fma_f64 v[179:180], v[191:192], s[14:15], -v[223:224]
	v_add_f64 v[50:51], v[68:69], v[50:51]
	v_mul_f64 v[68:69], v[183:184], s[18:19]
	v_add_f64 v[54:55], v[58:59], v[54:55]
	v_add_f64 v[18:19], v[225:226], v[18:19]
	v_mul_f64 v[225:226], v[197:198], s[14:15]
	v_add_f64 v[14:15], v[179:180], v[14:15]
	v_fma_f64 v[70:71], v[175:176], s[20:21], v[68:69]
	v_fma_f64 v[56:57], v[175:176], s[20:21], -v[68:69]
	v_fma_f64 v[238:239], v[193:194], s[6:7], v[225:226]
	v_fma_f64 v[179:180], v[193:194], s[46:47], v[225:226]
	v_add_f64 v[48:49], v[70:71], v[48:49]
	v_mul_f64 v[70:71], v[185:186], s[20:21]
	v_add_f64 v[52:53], v[56:57], v[52:53]
	v_add_f64 v[16:17], v[238:239], v[16:17]
	v_mul_f64 v[238:239], v[207:208], s[34:35]
	v_add_f64 v[12:13], v[179:180], v[12:13]
	v_fma_f64 v[91:92], v[177:178], s[48:49], v[70:71]
	v_fma_f64 v[58:59], v[177:178], s[18:19], v[70:71]
	;; [unrolled: 1-line block ×3, first 2 shown]
	v_fma_f64 v[179:180], v[199:200], s[8:9], -v[238:239]
	v_add_f64 v[50:51], v[91:92], v[50:51]
	v_mul_f64 v[91:92], v[195:196], s[34:35]
	v_add_f64 v[54:55], v[58:59], v[54:55]
	v_add_f64 v[18:19], v[240:241], v[18:19]
	v_mul_f64 v[240:241], v[209:210], s[8:9]
	v_add_f64 v[14:15], v[179:180], v[14:15]
	v_fma_f64 v[93:94], v[191:192], s[8:9], v[91:92]
	v_fma_f64 v[56:57], v[191:192], s[8:9], -v[91:92]
	v_fma_f64 v[179:180], v[201:202], s[34:35], v[240:241]
	v_fma_f64 v[242:243], v[201:202], s[40:41], v[240:241]
	v_add_f64 v[48:49], v[93:94], v[48:49]
	v_mul_f64 v[93:94], v[197:198], s[8:9]
	v_add_f64 v[52:53], v[56:57], v[52:53]
	v_add_f64 v[179:180], v[179:180], v[12:13]
	v_fma_f64 v[12:13], v[215:216], s[22:23], -v[244:245]
	v_add_f64 v[242:243], v[242:243], v[16:17]
	v_fma_f64 v[16:17], v[215:216], s[22:23], v[244:245]
	v_mul_f64 v[244:245], v[219:220], s[24:25]
	v_fma_f64 v[95:96], v[193:194], s[40:41], v[93:94]
	v_fma_f64 v[58:59], v[193:194], s[34:35], v[93:94]
	v_add_f64 v[12:13], v[12:13], v[14:15]
	v_add_f64 v[14:15], v[181:182], v[179:180]
	v_mul_f64 v[179:180], v[135:136], s[18:19]
	v_add_f64 v[16:17], v[16:17], v[18:19]
	v_fma_f64 v[18:19], v[217:218], s[44:45], v[246:247]
	v_mul_f64 v[246:247], v[221:222], s[28:29]
	v_add_f64 v[50:51], v[95:96], v[50:51]
	v_mul_f64 v[95:96], v[207:208], s[6:7]
	v_add_f64 v[54:55], v[58:59], v[54:55]
	v_fma_f64 v[181:182], v[123:124], s[20:21], v[179:180]
	v_fma_f64 v[179:180], v[123:124], s[20:21], -v[179:180]
	v_add_f64 v[18:19], v[18:19], v[242:243]
	v_fma_f64 v[97:98], v[199:200], s[14:15], v[95:96]
	v_fma_f64 v[56:57], v[199:200], s[14:15], -v[95:96]
	v_add_f64 v[26:27], v[181:182], v[26:27]
	v_mul_f64 v[181:182], v[137:138], s[20:21]
	v_add_f64 v[22:23], v[179:180], v[22:23]
	v_add_f64 v[48:49], v[97:98], v[48:49]
	v_mul_f64 v[97:98], v[209:210], s[14:15]
	v_add_f64 v[52:53], v[56:57], v[52:53]
	v_fma_f64 v[187:188], v[125:126], s[48:49], v[181:182]
	v_fma_f64 v[179:180], v[125:126], s[18:19], v[181:182]
	;; [unrolled: 1-line block ×5, first 2 shown]
	v_add_f64 v[24:25], v[187:188], v[24:25]
	v_mul_f64 v[187:188], v[159:160], s[56:57]
	v_add_f64 v[20:21], v[179:180], v[20:21]
	v_add_f64 v[50:51], v[99:100], v[50:51]
	v_mul_f64 v[99:100], v[219:220], s[30:31]
	v_add_f64 v[54:55], v[58:59], v[54:55]
	v_fma_f64 v[58:59], v[217:218], s[30:31], v[101:102]
	v_fma_f64 v[189:190], v[147:148], s[52:53], v[187:188]
	v_fma_f64 v[179:180], v[147:148], s[52:53], -v[187:188]
	v_fma_f64 v[103:104], v[215:216], s[4:5], v[99:100]
	v_fma_f64 v[56:57], v[215:216], s[4:5], -v[99:100]
	v_add_f64 v[54:55], v[58:59], v[54:55]
	v_add_f64 v[26:27], v[189:190], v[26:27]
	v_mul_f64 v[189:190], v[165:166], s[52:53]
	v_add_f64 v[22:23], v[179:180], v[22:23]
	v_add_f64 v[48:49], v[103:104], v[48:49]
	v_fma_f64 v[103:104], v[217:218], s[26:27], v[101:102]
	v_add_f64 v[52:53], v[56:57], v[52:53]
	v_cndmask_b32_e64 v56, 0, 0x2420, s1
	v_add_nc_u32_e32 v56, 0, v56
	v_add3_u32 v56, v56, v89, v75
	v_fma_f64 v[203:204], v[153:154], s[50:51], v[189:190]
	v_fma_f64 v[179:180], v[153:154], s[56:57], v[189:190]
	v_add_f64 v[50:51], v[103:104], v[50:51]
	v_add_f64 v[24:25], v[203:204], v[24:25]
	v_mul_f64 v[203:204], v[171:172], s[46:47]
	v_add_f64 v[20:21], v[179:180], v[20:21]
	v_fma_f64 v[205:206], v[167:168], s[14:15], v[203:204]
	v_fma_f64 v[179:180], v[167:168], s[14:15], -v[203:204]
	v_add_f64 v[26:27], v[205:206], v[26:27]
	v_mul_f64 v[205:206], v[173:174], s[14:15]
	v_add_f64 v[22:23], v[179:180], v[22:23]
	v_fma_f64 v[211:212], v[169:170], s[6:7], v[205:206]
	v_fma_f64 v[179:180], v[169:170], s[46:47], v[205:206]
	v_add_f64 v[24:25], v[211:212], v[24:25]
	v_mul_f64 v[211:212], v[183:184], s[36:37]
	v_add_f64 v[20:21], v[179:180], v[20:21]
	v_fma_f64 v[213:214], v[175:176], s[16:17], v[211:212]
	v_fma_f64 v[179:180], v[175:176], s[16:17], -v[211:212]
	v_add_f64 v[26:27], v[213:214], v[26:27]
	v_mul_f64 v[213:214], v[185:186], s[16:17]
	v_add_f64 v[22:23], v[179:180], v[22:23]
	v_fma_f64 v[223:224], v[177:178], s[42:43], v[213:214]
	v_fma_f64 v[179:180], v[177:178], s[36:37], v[213:214]
	;; [unrolled: 10-line block ×4, first 2 shown]
	v_add_f64 v[179:180], v[179:180], v[20:21]
	v_fma_f64 v[20:21], v[215:216], s[28:29], -v[244:245]
	v_add_f64 v[242:243], v[242:243], v[24:25]
	v_fma_f64 v[24:25], v[215:216], s[28:29], v[244:245]
	v_mul_f64 v[244:245], v[219:220], s[36:37]
	v_add_f64 v[20:21], v[20:21], v[22:23]
	v_add_f64 v[22:23], v[181:182], v[179:180]
	v_mul_f64 v[179:180], v[135:136], s[50:51]
	v_add_f64 v[24:25], v[24:25], v[26:27]
	v_fma_f64 v[26:27], v[217:218], s[54:55], v[246:247]
	v_mul_f64 v[246:247], v[221:222], s[16:17]
	v_fma_f64 v[181:182], v[123:124], s[52:53], v[179:180]
	v_fma_f64 v[179:180], v[123:124], s[52:53], -v[179:180]
	v_add_f64 v[26:27], v[26:27], v[242:243]
	v_add_f64 v[34:35], v[181:182], v[34:35]
	v_mul_f64 v[181:182], v[137:138], s[52:53]
	v_add_f64 v[30:31], v[179:180], v[30:31]
	v_fma_f64 v[187:188], v[125:126], s[56:57], v[181:182]
	v_fma_f64 v[179:180], v[125:126], s[50:51], v[181:182]
	;; [unrolled: 1-line block ×3, first 2 shown]
	v_add_f64 v[32:33], v[187:188], v[32:33]
	v_mul_f64 v[187:188], v[159:160], s[46:47]
	v_add_f64 v[28:29], v[179:180], v[28:29]
	v_fma_f64 v[189:190], v[147:148], s[14:15], v[187:188]
	v_fma_f64 v[179:180], v[147:148], s[14:15], -v[187:188]
	v_add_f64 v[34:35], v[189:190], v[34:35]
	v_mul_f64 v[189:190], v[165:166], s[14:15]
	v_add_f64 v[30:31], v[179:180], v[30:31]
	v_fma_f64 v[203:204], v[153:154], s[6:7], v[189:190]
	v_fma_f64 v[179:180], v[153:154], s[46:47], v[189:190]
	v_add_f64 v[32:33], v[203:204], v[32:33]
	v_mul_f64 v[203:204], v[171:172], s[38:39]
	v_add_f64 v[28:29], v[179:180], v[28:29]
	v_fma_f64 v[205:206], v[167:168], s[22:23], v[203:204]
	v_fma_f64 v[179:180], v[167:168], s[22:23], -v[203:204]
	v_add_f64 v[34:35], v[205:206], v[34:35]
	v_mul_f64 v[205:206], v[173:174], s[22:23]
	v_add_f64 v[30:31], v[179:180], v[30:31]
	v_fma_f64 v[211:212], v[169:170], s[44:45], v[205:206]
	v_fma_f64 v[179:180], v[169:170], s[38:39], v[205:206]
	;; [unrolled: 10-line block ×5, first 2 shown]
	v_add_f64 v[179:180], v[179:180], v[28:29]
	v_fma_f64 v[28:29], v[215:216], s[16:17], -v[244:245]
	v_add_f64 v[242:243], v[242:243], v[32:33]
	v_fma_f64 v[32:33], v[215:216], s[16:17], v[244:245]
	v_mul_f64 v[244:245], v[219:220], s[18:19]
	v_add_f64 v[28:29], v[28:29], v[30:31]
	v_add_f64 v[30:31], v[181:182], v[179:180]
	v_mul_f64 v[179:180], v[135:136], s[54:55]
	v_add_f64 v[32:33], v[32:33], v[34:35]
	v_fma_f64 v[34:35], v[217:218], s[42:43], v[246:247]
	v_mul_f64 v[246:247], v[221:222], s[20:21]
	v_fma_f64 v[181:182], v[123:124], s[28:29], v[179:180]
	v_fma_f64 v[179:180], v[123:124], s[28:29], -v[179:180]
	v_add_f64 v[34:35], v[34:35], v[242:243]
	v_add_f64 v[163:164], v[181:182], v[163:164]
	v_mul_f64 v[181:182], v[137:138], s[28:29]
	v_add_f64 v[157:158], v[179:180], v[157:158]
	v_fma_f64 v[187:188], v[125:126], s[24:25], v[181:182]
	v_fma_f64 v[179:180], v[125:126], s[54:55], v[181:182]
	;; [unrolled: 1-line block ×3, first 2 shown]
	v_add_f64 v[161:162], v[187:188], v[161:162]
	v_mul_f64 v[187:188], v[159:160], s[36:37]
	v_add_f64 v[155:156], v[179:180], v[155:156]
	v_fma_f64 v[189:190], v[147:148], s[16:17], v[187:188]
	v_fma_f64 v[179:180], v[147:148], s[16:17], -v[187:188]
	v_add_f64 v[163:164], v[189:190], v[163:164]
	v_mul_f64 v[189:190], v[165:166], s[16:17]
	v_add_f64 v[157:158], v[179:180], v[157:158]
	v_fma_f64 v[203:204], v[153:154], s[42:43], v[189:190]
	v_fma_f64 v[179:180], v[153:154], s[36:37], v[189:190]
	v_add_f64 v[161:162], v[203:204], v[161:162]
	v_mul_f64 v[203:204], v[171:172], s[40:41]
	v_add_f64 v[155:156], v[179:180], v[155:156]
	v_fma_f64 v[205:206], v[167:168], s[8:9], v[203:204]
	v_fma_f64 v[179:180], v[167:168], s[8:9], -v[203:204]
	v_add_f64 v[163:164], v[205:206], v[163:164]
	v_mul_f64 v[205:206], v[173:174], s[8:9]
	v_add_f64 v[157:158], v[179:180], v[157:158]
	v_fma_f64 v[211:212], v[169:170], s[34:35], v[205:206]
	v_fma_f64 v[179:180], v[169:170], s[40:41], v[205:206]
	;; [unrolled: 10-line block ×5, first 2 shown]
	v_add_f64 v[179:180], v[179:180], v[155:156]
	v_fma_f64 v[155:156], v[215:216], s[20:21], -v[244:245]
	v_add_f64 v[242:243], v[242:243], v[161:162]
	v_fma_f64 v[161:162], v[215:216], s[20:21], v[244:245]
	v_mul_f64 v[244:245], v[219:220], s[34:35]
	v_add_f64 v[155:156], v[155:156], v[157:158]
	v_add_f64 v[157:158], v[181:182], v[179:180]
	v_mul_f64 v[179:180], v[135:136], s[46:47]
	v_add_f64 v[161:162], v[161:162], v[163:164]
	v_fma_f64 v[163:164], v[217:218], s[48:49], v[246:247]
	v_mul_f64 v[246:247], v[221:222], s[8:9]
	v_fma_f64 v[181:182], v[123:124], s[14:15], v[179:180]
	v_fma_f64 v[179:180], v[123:124], s[14:15], -v[179:180]
	v_add_f64 v[163:164], v[163:164], v[242:243]
	v_add_f64 v[151:152], v[181:182], v[151:152]
	v_mul_f64 v[181:182], v[137:138], s[14:15]
	v_add_f64 v[145:146], v[179:180], v[145:146]
	v_fma_f64 v[187:188], v[125:126], s[6:7], v[181:182]
	v_fma_f64 v[179:180], v[125:126], s[46:47], v[181:182]
	v_fma_f64 v[181:182], v[217:218], s[34:35], v[246:247]
	v_add_f64 v[149:150], v[187:188], v[149:150]
	v_mul_f64 v[187:188], v[159:160], s[44:45]
	v_add_f64 v[143:144], v[179:180], v[143:144]
	v_fma_f64 v[189:190], v[147:148], s[22:23], v[187:188]
	v_fma_f64 v[179:180], v[147:148], s[22:23], -v[187:188]
	v_add_f64 v[151:152], v[189:190], v[151:152]
	v_mul_f64 v[189:190], v[165:166], s[22:23]
	v_add_f64 v[145:146], v[179:180], v[145:146]
	v_fma_f64 v[203:204], v[153:154], s[38:39], v[189:190]
	v_fma_f64 v[179:180], v[153:154], s[44:45], v[189:190]
	v_add_f64 v[149:150], v[203:204], v[149:150]
	v_mul_f64 v[203:204], v[171:172], s[24:25]
	v_add_f64 v[143:144], v[179:180], v[143:144]
	v_fma_f64 v[205:206], v[167:168], s[28:29], v[203:204]
	v_fma_f64 v[179:180], v[167:168], s[28:29], -v[203:204]
	v_add_f64 v[151:152], v[205:206], v[151:152]
	v_mul_f64 v[205:206], v[173:174], s[28:29]
	v_add_f64 v[145:146], v[179:180], v[145:146]
	v_fma_f64 v[211:212], v[169:170], s[54:55], v[205:206]
	v_fma_f64 v[179:180], v[169:170], s[24:25], v[205:206]
	;; [unrolled: 10-line block ×5, first 2 shown]
	v_add_f64 v[242:243], v[242:243], v[149:150]
	v_fma_f64 v[149:150], v[215:216], s[8:9], v[244:245]
	v_add_f64 v[179:180], v[179:180], v[143:144]
	v_fma_f64 v[143:144], v[215:216], s[8:9], -v[244:245]
	v_add_f64 v[149:150], v[149:150], v[151:152]
	v_fma_f64 v[151:152], v[217:218], s[40:41], v[246:247]
	v_add_f64 v[143:144], v[143:144], v[145:146]
	v_add_f64 v[145:146], v[181:182], v[179:180]
	;; [unrolled: 1-line block ×3, first 2 shown]
	ds_write_b128 v56, v[36:39]
	ds_write_b128 v56, v[8:11] offset:544
	ds_write_b128 v56, v[16:19] offset:1088
	;; [unrolled: 1-line block ×16, first 2 shown]
	s_waitcnt lgkmcnt(0)
	s_barrier
	buffer_gl0_inv
	ds_read_b128 v[8:11], v228
	ds_read_b128 v[40:43], v230 offset:9248
	ds_read_b128 v[44:47], v230 offset:10336
	;; [unrolled: 1-line block ×3, first 2 shown]
	ds_read_b128 v[12:15], v236
	ds_read_b128 v[16:19], v235
	ds_read_b128 v[52:55], v230 offset:12512
	ds_read_b128 v[56:59], v230 offset:13600
	ds_read_b128 v[24:27], v234
	ds_read_b128 v[28:31], v233
	ds_read_b128 v[60:63], v230 offset:14688
	ds_read_b128 v[64:67], v230 offset:15776
	ds_read_b128 v[32:35], v232
	ds_read_b128 v[20:23], v231
	;; [unrolled: 1-line block ×3, first 2 shown]
	ds_read_b128 v[68:71], v230 offset:16864
	s_and_saveexec_b32 s1, s0
	s_cbranch_execz .LBB0_18
; %bb.17:
	ds_read_b128 v[4:7], v85
	ds_read_b128 v[0:3], v230 offset:17952
	v_mov_b32_e32 v88, v78
.LBB0_18:
	s_or_b32 exec_lo, exec_lo, s1
	v_mov_b32_e32 v75, v90
	v_mov_b32_e32 v87, v90
	;; [unrolled: 1-line block ×3, first 2 shown]
	v_lshlrev_b64 v[97:98], 4, v[74:75]
	v_lshlrev_b64 v[95:96], 4, v[86:87]
	;; [unrolled: 1-line block ×3, first 2 shown]
	v_mov_b32_e32 v84, v90
	v_add_co_u32 v75, s1, s12, v97
	v_add_co_ci_u32_e64 v86, s1, s13, v98, s1
	v_add_co_u32 v87, s1, s12, v95
	v_add_co_ci_u32_e64 v89, s1, s13, v96, s1
	;; [unrolled: 2-line block ×5, first 2 shown]
	v_lshlrev_b64 v[91:92], 4, v[83:84]
	v_add_co_u32 v107, s1, 0x2000, v75
	v_mov_b32_e32 v83, v90
	v_add_co_ci_u32_e64 v108, s1, 0, v85, s1
	v_add_co_u32 v75, s1, s12, v91
	v_add_co_ci_u32_e64 v84, s1, s13, v92, s1
	v_lshlrev_b64 v[85:86], 4, v[82:83]
	v_add_co_u32 v111, s1, 0x2000, v75
	v_add_co_ci_u32_e64 v112, s1, 0, v84, s1
	v_mov_b32_e32 v82, v90
	v_add_co_u32 v75, s1, s12, v85
	v_add_co_ci_u32_e64 v83, s1, s13, v86, s1
	s_clause 0x1
	global_load_dwordx4 v[99:102], v[99:100], off offset:784
	global_load_dwordx4 v[103:106], v[103:104], off offset:784
	v_add_co_u32 v115, s1, 0x2000, v75
	v_add_co_ci_u32_e64 v116, s1, 0, v83, s1
	v_lshlrev_b64 v[83:84], 4, v[81:82]
	v_mov_b32_e32 v81, v90
	s_clause 0x2
	global_load_dwordx4 v[107:110], v[107:108], off offset:784
	global_load_dwordx4 v[111:114], v[111:112], off offset:784
	;; [unrolled: 1-line block ×3, first 2 shown]
	v_add_co_u32 v75, s1, s12, v83
	v_lshlrev_b64 v[81:82], 4, v[80:81]
	v_mov_b32_e32 v80, v90
	v_add_co_ci_u32_e64 v87, s1, s13, v84, s1
	v_add_co_u32 v89, s1, 0x2000, v75
	v_lshlrev_b64 v[79:80], 4, v[79:80]
	v_add_co_ci_u32_e64 v90, s1, 0, v87, s1
	v_add_co_u32 v75, s1, s12, v81
	v_add_co_ci_u32_e64 v87, s1, s13, v82, s1
	v_add_co_u32 v119, s1, s12, v79
	;; [unrolled: 2-line block ×4, first 2 shown]
	v_add_co_ci_u32_e64 v128, s1, 0, v120, s1
	s_clause 0x2
	global_load_dwordx4 v[119:122], v[89:90], off offset:784
	global_load_dwordx4 v[123:126], v[123:124], off offset:784
	;; [unrolled: 1-line block ×3, first 2 shown]
	s_waitcnt vmcnt(0) lgkmcnt(0)
	s_barrier
	buffer_gl0_inv
	v_mul_f64 v[89:90], v[42:43], v[101:102]
	v_mul_f64 v[101:102], v[40:41], v[101:102]
	;; [unrolled: 1-line block ×10, first 2 shown]
	v_fma_f64 v[40:41], v[40:41], v[99:100], v[89:90]
	v_fma_f64 v[42:43], v[42:43], v[99:100], -v[101:102]
	v_fma_f64 v[44:45], v[44:45], v[103:104], v[131:132]
	v_fma_f64 v[46:47], v[46:47], v[103:104], -v[105:106]
	;; [unrolled: 2-line block ×5, first 2 shown]
	v_mul_f64 v[139:140], v[62:63], v[121:122]
	v_mul_f64 v[121:122], v[60:61], v[121:122]
	v_mul_f64 v[141:142], v[66:67], v[125:126]
	v_mul_f64 v[125:126], v[64:65], v[125:126]
	v_mul_f64 v[143:144], v[70:71], v[129:130]
	v_mul_f64 v[129:130], v[68:69], v[129:130]
	v_add_f64 v[40:41], v[8:9], -v[40:41]
	v_add_f64 v[42:43], v[10:11], -v[42:43]
	;; [unrolled: 1-line block ×10, first 2 shown]
	v_fma_f64 v[60:61], v[60:61], v[119:120], v[139:140]
	v_fma_f64 v[62:63], v[62:63], v[119:120], -v[121:122]
	v_fma_f64 v[64:65], v[64:65], v[123:124], v[141:142]
	v_fma_f64 v[66:67], v[66:67], v[123:124], -v[125:126]
	;; [unrolled: 2-line block ×3, first 2 shown]
	v_fma_f64 v[8:9], v[8:9], 2.0, -v[40:41]
	v_fma_f64 v[10:11], v[10:11], 2.0, -v[42:43]
	;; [unrolled: 1-line block ×10, first 2 shown]
	v_add_f64 v[60:61], v[28:29], -v[60:61]
	v_add_f64 v[62:63], v[30:31], -v[62:63]
	;; [unrolled: 1-line block ×6, first 2 shown]
	v_fma_f64 v[28:29], v[28:29], 2.0, -v[60:61]
	v_fma_f64 v[30:31], v[30:31], 2.0, -v[62:63]
	;; [unrolled: 1-line block ×6, first 2 shown]
	ds_write_b128 v230, v[40:43] offset:9248
	ds_write_b128 v230, v[8:11]
	ds_write_b128 v237, v[36:39]
	ds_write_b128 v237, v[44:47] offset:9248
	ds_write_b128 v236, v[12:15]
	ds_write_b128 v236, v[48:51] offset:9248
	;; [unrolled: 2-line block ×7, first 2 shown]
	s_and_saveexec_b32 s4, s0
	s_cbranch_execz .LBB0_20
; %bb.19:
	v_mov_b32_e32 v89, 0
	v_lshlrev_b64 v[8:9], 4, v[88:89]
	v_add_co_u32 v8, s1, s12, v8
	v_add_co_ci_u32_e64 v9, s1, s13, v9, s1
	v_add_co_u32 v8, s1, 0x2000, v8
	v_add_co_ci_u32_e64 v9, s1, 0, v9, s1
	global_load_dwordx4 v[8:11], v[8:9], off offset:784
	s_waitcnt vmcnt(0)
	v_mul_f64 v[12:13], v[0:1], v[10:11]
	v_mul_f64 v[10:11], v[2:3], v[10:11]
	v_fma_f64 v[2:3], v[2:3], v[8:9], -v[12:13]
	v_fma_f64 v[0:1], v[0:1], v[8:9], v[10:11]
	v_add_f64 v[2:3], v[6:7], -v[2:3]
	v_add_f64 v[0:1], v[4:5], -v[0:1]
	v_fma_f64 v[6:7], v[6:7], 2.0, -v[2:3]
	v_fma_f64 v[4:5], v[4:5], 2.0, -v[0:1]
	ds_write_b128 v230, v[4:7] offset:8704
	ds_write_b128 v230, v[0:3] offset:17952
.LBB0_20:
	s_or_b32 exec_lo, exec_lo, s4
	s_waitcnt lgkmcnt(0)
	s_barrier
	buffer_gl0_inv
	ds_read_b128 v[8:11], v228
	v_sub_nc_u32_e32 v12, v227, v229
	s_add_u32 s4, s12, 0x4730
	s_addc_u32 s5, s13, 0
	s_mov_b32 s6, exec_lo
                                        ; implicit-def: $vgpr2_vgpr3
                                        ; implicit-def: $vgpr6_vgpr7
	v_cmpx_ne_u32_e32 0, v74
	s_xor_b32 s6, exec_lo, s6
	s_cbranch_execz .LBB0_22
; %bb.21:
	v_add_co_u32 v0, s1, s4, v97
	v_add_co_ci_u32_e64 v1, s1, s5, v98, s1
	ds_read_b128 v[13:16], v12 offset:18496
	global_load_dwordx4 v[2:5], v[0:1], off
	s_waitcnt lgkmcnt(0)
	v_add_f64 v[0:1], v[8:9], -v[13:14]
	v_add_f64 v[6:7], v[10:11], v[15:16]
	v_add_f64 v[10:11], v[10:11], -v[15:16]
	v_mul_f64 v[15:16], v[0:1], 0.5
	v_add_f64 v[0:1], v[8:9], v[13:14]
	v_mul_f64 v[8:9], v[6:7], 0.5
	v_mul_f64 v[6:7], v[10:11], 0.5
	s_waitcnt vmcnt(0)
	v_mul_f64 v[10:11], v[15:16], v[4:5]
	v_fma_f64 v[13:14], v[8:9], v[4:5], v[6:7]
	v_fma_f64 v[17:18], v[0:1], 0.5, v[10:11]
	v_fma_f64 v[0:1], v[0:1], 0.5, -v[10:11]
	v_fma_f64 v[10:11], v[8:9], v[4:5], -v[6:7]
	v_fma_f64 v[6:7], -v[2:3], v[15:16], v[13:14]
	v_fma_f64 v[4:5], v[8:9], v[2:3], v[17:18]
	v_fma_f64 v[0:1], -v[8:9], v[2:3], v[0:1]
	v_fma_f64 v[2:3], -v[2:3], v[15:16], v[10:11]
                                        ; implicit-def: $vgpr8_vgpr9
.LBB0_22:
	s_andn2_saveexec_b32 s1, s6
	s_cbranch_execz .LBB0_24
; %bb.23:
	ds_read_b64 v[13:14], v227 offset:9256
	s_waitcnt lgkmcnt(1)
	v_add_f64 v[4:5], v[8:9], v[10:11]
	v_add_f64 v[0:1], v[8:9], -v[10:11]
	v_mov_b32_e32 v6, 0
	v_mov_b32_e32 v7, 0
	;; [unrolled: 1-line block ×4, first 2 shown]
	s_waitcnt lgkmcnt(0)
	v_xor_b32_e32 v14, 0x80000000, v14
	ds_write_b64 v227, v[13:14] offset:9256
.LBB0_24:
	s_or_b32 exec_lo, exec_lo, s1
	s_waitcnt lgkmcnt(0)
	v_add_co_u32 v8, s1, s4, v95
	v_add_co_ci_u32_e64 v9, s1, s5, v96, s1
	v_add_co_u32 v13, s1, s4, v93
	v_add_co_ci_u32_e64 v14, s1, s5, v94, s1
	global_load_dwordx4 v[8:11], v[8:9], off
	v_add_co_u32 v17, s1, s4, v91
	global_load_dwordx4 v[13:16], v[13:14], off
	ds_write_b128 v228, v[4:7]
	ds_write_b128 v12, v[0:3] offset:18496
	ds_read_b128 v[0:3], v237
	ds_read_b128 v[4:7], v12 offset:17408
	v_add_co_ci_u32_e64 v18, s1, s5, v92, s1
	global_load_dwordx4 v[17:20], v[17:18], off
	s_waitcnt lgkmcnt(0)
	v_add_f64 v[21:22], v[0:1], -v[4:5]
	v_add_f64 v[23:24], v[2:3], v[6:7]
	v_add_f64 v[2:3], v[2:3], -v[6:7]
	v_add_f64 v[0:1], v[0:1], v[4:5]
	v_mul_f64 v[6:7], v[21:22], 0.5
	v_mul_f64 v[21:22], v[23:24], 0.5
	v_mul_f64 v[2:3], v[2:3], 0.5
	s_waitcnt vmcnt(2)
	v_mul_f64 v[4:5], v[6:7], v[10:11]
	v_fma_f64 v[23:24], v[21:22], v[10:11], v[2:3]
	v_fma_f64 v[10:11], v[21:22], v[10:11], -v[2:3]
	v_fma_f64 v[25:26], v[0:1], 0.5, v[4:5]
	v_fma_f64 v[4:5], v[0:1], 0.5, -v[4:5]
	v_fma_f64 v[2:3], -v[8:9], v[6:7], v[23:24]
	v_fma_f64 v[6:7], -v[8:9], v[6:7], v[10:11]
	v_fma_f64 v[0:1], v[21:22], v[8:9], v[25:26]
	v_fma_f64 v[4:5], -v[21:22], v[8:9], v[4:5]
	v_add_co_u32 v8, s1, s4, v85
	v_add_co_ci_u32_e64 v9, s1, s5, v86, s1
	ds_write_b128 v237, v[0:3]
	ds_write_b128 v12, v[4:7] offset:17408
	ds_read_b128 v[0:3], v236
	ds_read_b128 v[4:7], v12 offset:16320
	global_load_dwordx4 v[8:11], v[8:9], off
	s_waitcnt lgkmcnt(0)
	v_add_f64 v[21:22], v[0:1], -v[4:5]
	v_add_f64 v[23:24], v[2:3], v[6:7]
	v_add_f64 v[2:3], v[2:3], -v[6:7]
	v_add_f64 v[0:1], v[0:1], v[4:5]
	v_mul_f64 v[6:7], v[21:22], 0.5
	v_mul_f64 v[21:22], v[23:24], 0.5
	v_mul_f64 v[2:3], v[2:3], 0.5
	s_waitcnt vmcnt(2)
	v_mul_f64 v[4:5], v[6:7], v[15:16]
	v_fma_f64 v[23:24], v[21:22], v[15:16], v[2:3]
	v_fma_f64 v[15:16], v[21:22], v[15:16], -v[2:3]
	v_fma_f64 v[25:26], v[0:1], 0.5, v[4:5]
	v_fma_f64 v[4:5], v[0:1], 0.5, -v[4:5]
	v_fma_f64 v[2:3], -v[13:14], v[6:7], v[23:24]
	v_fma_f64 v[6:7], -v[13:14], v[6:7], v[15:16]
	v_fma_f64 v[0:1], v[21:22], v[13:14], v[25:26]
	v_fma_f64 v[4:5], -v[21:22], v[13:14], v[4:5]
	v_add_co_u32 v13, s1, s4, v83
	v_add_co_ci_u32_e64 v14, s1, s5, v84, s1
	ds_write_b128 v236, v[0:3]
	ds_write_b128 v12, v[4:7] offset:16320
	ds_read_b128 v[0:3], v235
	ds_read_b128 v[4:7], v12 offset:15232
	;; [unrolled: 25-line block ×4, first 2 shown]
	global_load_dwordx4 v[8:11], v[8:9], off
	s_waitcnt lgkmcnt(0)
	v_add_f64 v[21:22], v[0:1], -v[4:5]
	v_add_f64 v[23:24], v[2:3], v[6:7]
	v_add_f64 v[2:3], v[2:3], -v[6:7]
	v_add_f64 v[0:1], v[0:1], v[4:5]
	v_mul_f64 v[6:7], v[21:22], 0.5
	v_mul_f64 v[21:22], v[23:24], 0.5
	;; [unrolled: 1-line block ×3, first 2 shown]
	s_waitcnt vmcnt(2)
	v_mul_f64 v[4:5], v[6:7], v[15:16]
	v_fma_f64 v[23:24], v[21:22], v[15:16], v[2:3]
	v_fma_f64 v[15:16], v[21:22], v[15:16], -v[2:3]
	v_fma_f64 v[25:26], v[0:1], 0.5, v[4:5]
	v_fma_f64 v[4:5], v[0:1], 0.5, -v[4:5]
	v_fma_f64 v[2:3], -v[13:14], v[6:7], v[23:24]
	v_fma_f64 v[6:7], -v[13:14], v[6:7], v[15:16]
	v_fma_f64 v[0:1], v[21:22], v[13:14], v[25:26]
	v_fma_f64 v[4:5], -v[21:22], v[13:14], v[4:5]
	ds_write_b128 v233, v[0:3]
	ds_write_b128 v12, v[4:7] offset:13056
	ds_read_b128 v[0:3], v232
	ds_read_b128 v[4:7], v12 offset:11968
	s_waitcnt lgkmcnt(0)
	v_add_f64 v[13:14], v[0:1], -v[4:5]
	v_add_f64 v[15:16], v[2:3], v[6:7]
	v_add_f64 v[2:3], v[2:3], -v[6:7]
	v_add_f64 v[0:1], v[0:1], v[4:5]
	v_mul_f64 v[6:7], v[13:14], 0.5
	v_mul_f64 v[13:14], v[15:16], 0.5
	;; [unrolled: 1-line block ×3, first 2 shown]
	s_waitcnt vmcnt(1)
	v_mul_f64 v[4:5], v[6:7], v[19:20]
	v_fma_f64 v[15:16], v[13:14], v[19:20], v[2:3]
	v_fma_f64 v[19:20], v[13:14], v[19:20], -v[2:3]
	v_fma_f64 v[21:22], v[0:1], 0.5, v[4:5]
	v_fma_f64 v[4:5], v[0:1], 0.5, -v[4:5]
	v_fma_f64 v[2:3], -v[17:18], v[6:7], v[15:16]
	v_fma_f64 v[6:7], -v[17:18], v[6:7], v[19:20]
	v_fma_f64 v[0:1], v[13:14], v[17:18], v[21:22]
	v_fma_f64 v[4:5], -v[13:14], v[17:18], v[4:5]
	ds_write_b128 v232, v[0:3]
	ds_write_b128 v12, v[4:7] offset:11968
	ds_read_b128 v[0:3], v231
	ds_read_b128 v[4:7], v12 offset:10880
	s_waitcnt lgkmcnt(0)
	v_add_f64 v[13:14], v[0:1], -v[4:5]
	v_add_f64 v[15:16], v[2:3], v[6:7]
	v_add_f64 v[2:3], v[2:3], -v[6:7]
	v_add_f64 v[0:1], v[0:1], v[4:5]
	v_mul_f64 v[6:7], v[13:14], 0.5
	v_mul_f64 v[13:14], v[15:16], 0.5
	;; [unrolled: 1-line block ×3, first 2 shown]
	s_waitcnt vmcnt(0)
	v_mul_f64 v[4:5], v[6:7], v[10:11]
	v_fma_f64 v[15:16], v[13:14], v[10:11], v[2:3]
	v_fma_f64 v[10:11], v[13:14], v[10:11], -v[2:3]
	v_fma_f64 v[17:18], v[0:1], 0.5, v[4:5]
	v_fma_f64 v[4:5], v[0:1], 0.5, -v[4:5]
	v_fma_f64 v[2:3], -v[8:9], v[6:7], v[15:16]
	v_fma_f64 v[6:7], -v[8:9], v[6:7], v[10:11]
	v_fma_f64 v[0:1], v[13:14], v[8:9], v[17:18]
	v_fma_f64 v[4:5], -v[13:14], v[8:9], v[4:5]
	ds_write_b128 v231, v[0:3]
	ds_write_b128 v12, v[4:7] offset:10880
	s_and_saveexec_b32 s1, s0
	s_cbranch_execz .LBB0_26
; %bb.25:
	v_mov_b32_e32 v79, 0
	v_lshl_add_u32 v19, v78, 4, v227
	v_lshlrev_b64 v[0:1], 4, v[78:79]
	v_add_co_u32 v0, s0, s4, v0
	v_add_co_ci_u32_e64 v1, s0, s5, v1, s0
	global_load_dwordx4 v[0:3], v[0:1], off
	ds_read_b128 v[4:7], v19
	ds_read_b128 v[8:11], v12 offset:9792
	s_waitcnt lgkmcnt(0)
	v_add_f64 v[13:14], v[4:5], -v[8:9]
	v_add_f64 v[15:16], v[6:7], v[10:11]
	v_add_f64 v[6:7], v[6:7], -v[10:11]
	v_add_f64 v[4:5], v[4:5], v[8:9]
	v_mul_f64 v[10:11], v[13:14], 0.5
	v_mul_f64 v[13:14], v[15:16], 0.5
	;; [unrolled: 1-line block ×3, first 2 shown]
	s_waitcnt vmcnt(0)
	v_mul_f64 v[8:9], v[10:11], v[2:3]
	v_fma_f64 v[15:16], v[13:14], v[2:3], v[6:7]
	v_fma_f64 v[2:3], v[13:14], v[2:3], -v[6:7]
	v_fma_f64 v[6:7], v[4:5], 0.5, v[8:9]
	v_fma_f64 v[17:18], v[4:5], 0.5, -v[8:9]
	v_fma_f64 v[4:5], -v[0:1], v[10:11], v[15:16]
	v_fma_f64 v[8:9], -v[0:1], v[10:11], v[2:3]
	v_fma_f64 v[2:3], v[13:14], v[0:1], v[6:7]
	v_fma_f64 v[6:7], -v[13:14], v[0:1], v[17:18]
	ds_write_b128 v19, v[2:5]
	ds_write_b128 v12, v[6:9] offset:9792
.LBB0_26:
	s_or_b32 exec_lo, exec_lo, s1
	s_waitcnt lgkmcnt(0)
	s_barrier
	buffer_gl0_inv
	s_and_saveexec_b32 s0, vcc_lo
	s_cbranch_execz .LBB0_29
; %bb.27:
	v_mul_lo_u32 v3, s3, v76
	v_mul_lo_u32 v4, s2, v77
	v_mad_u64_u32 v[1:2], null, s2, v76, 0
	v_mov_b32_e32 v75, 0
	v_lshlrev_b64 v[15:16], 4, v[72:73]
	v_lshl_add_u32 v0, v74, 4, v227
	v_add_nc_u32_e32 v17, 0x44, v74
	v_add_nc_u32_e32 v19, 0x88, v74
	v_mov_b32_e32 v18, v75
	v_add3_u32 v2, v2, v4, v3
	v_lshlrev_b64 v[21:22], 4, v[74:75]
	ds_read_b128 v[3:6], v0
	ds_read_b128 v[7:10], v0 offset:1088
	v_mov_b32_e32 v20, v75
	ds_read_b128 v[11:14], v0 offset:2176
	v_lshlrev_b64 v[1:2], 4, v[1:2]
	v_add_nc_u32_e32 v29, 0xcc, v74
	v_mov_b32_e32 v30, v75
	v_add_nc_u32_e32 v31, 0x110, v74
	v_mov_b32_e32 v32, v75
	v_add_co_u32 v1, vcc_lo, s10, v1
	v_add_co_ci_u32_e32 v2, vcc_lo, s11, v2, vcc_lo
	v_lshlrev_b64 v[29:30], 4, v[29:30]
	v_add_co_u32 v1, vcc_lo, v1, v15
	v_add_co_ci_u32_e32 v2, vcc_lo, v2, v16, vcc_lo
	v_lshlrev_b64 v[15:16], 4, v[17:18]
	v_add_co_u32 v23, vcc_lo, v1, v21
	v_lshlrev_b64 v[17:18], 4, v[19:20]
	v_add_co_ci_u32_e32 v24, vcc_lo, v2, v22, vcc_lo
	v_add_co_u32 v25, vcc_lo, v1, v15
	v_add_co_ci_u32_e32 v26, vcc_lo, v2, v16, vcc_lo
	v_add_co_u32 v27, vcc_lo, v1, v17
	v_add_co_ci_u32_e32 v28, vcc_lo, v2, v18, vcc_lo
	ds_read_b128 v[15:18], v0 offset:3264
	ds_read_b128 v[19:22], v0 offset:4352
	s_waitcnt lgkmcnt(4)
	global_store_dwordx4 v[23:24], v[3:6], off
	s_waitcnt lgkmcnt(3)
	global_store_dwordx4 v[25:26], v[7:10], off
	s_waitcnt lgkmcnt(2)
	global_store_dwordx4 v[27:28], v[11:14], off
	v_lshlrev_b64 v[3:4], 4, v[31:32]
	v_add_co_u32 v5, vcc_lo, v1, v29
	v_add_co_ci_u32_e32 v6, vcc_lo, v2, v30, vcc_lo
	v_add_nc_u32_e32 v9, 0x154, v74
	v_add_co_u32 v7, vcc_lo, v1, v3
	v_add_co_ci_u32_e32 v8, vcc_lo, v2, v4, vcc_lo
	v_mov_b32_e32 v10, v75
	v_add_nc_u32_e32 v11, 0x198, v74
	v_mov_b32_e32 v12, v75
	v_add_nc_u32_e32 v27, 0x220, v74
	;; [unrolled: 2-line block ×3, first 2 shown]
	s_waitcnt lgkmcnt(1)
	global_store_dwordx4 v[5:6], v[15:18], off
	s_waitcnt lgkmcnt(0)
	global_store_dwordx4 v[7:8], v[19:22], off
	v_lshlrev_b64 v[15:16], 4, v[9:10]
	ds_read_b128 v[3:6], v0 offset:5440
	v_lshlrev_b64 v[17:18], 4, v[11:12]
	v_add_nc_u32_e32 v19, 0x1dc, v74
	v_mov_b32_e32 v20, v75
	ds_read_b128 v[7:10], v0 offset:6528
	ds_read_b128 v[11:14], v0 offset:7616
	v_add_co_u32 v23, vcc_lo, v1, v15
	v_add_co_ci_u32_e32 v24, vcc_lo, v2, v16, vcc_lo
	v_lshlrev_b64 v[19:20], 4, v[19:20]
	v_add_co_u32 v25, vcc_lo, v1, v17
	v_add_co_ci_u32_e32 v26, vcc_lo, v2, v18, vcc_lo
	ds_read_b128 v[15:18], v0 offset:8704
	v_add_co_u32 v29, vcc_lo, v1, v19
	v_add_co_ci_u32_e32 v30, vcc_lo, v2, v20, vcc_lo
	ds_read_b128 v[19:22], v0 offset:9792
	v_lshlrev_b64 v[27:28], 4, v[27:28]
	s_waitcnt lgkmcnt(4)
	global_store_dwordx4 v[23:24], v[3:6], off
	s_waitcnt lgkmcnt(3)
	global_store_dwordx4 v[25:26], v[7:10], off
	;; [unrolled: 2-line block ×3, first 2 shown]
	v_lshlrev_b64 v[3:4], 4, v[31:32]
	v_add_co_u32 v5, vcc_lo, v1, v27
	v_add_co_ci_u32_e32 v6, vcc_lo, v2, v28, vcc_lo
	v_add_nc_u32_e32 v7, 0x2a8, v74
	v_add_co_u32 v3, vcc_lo, v1, v3
	v_add_co_ci_u32_e32 v4, vcc_lo, v2, v4, vcc_lo
	v_mov_b32_e32 v8, v75
	s_waitcnt lgkmcnt(1)
	global_store_dwordx4 v[5:6], v[15:18], off
	v_add_nc_u32_e32 v11, 0x2ec, v74
	v_mov_b32_e32 v12, v75
	s_waitcnt lgkmcnt(0)
	global_store_dwordx4 v[3:4], v[19:22], off
	v_lshlrev_b64 v[15:16], 4, v[7:8]
	ds_read_b128 v[3:6], v0 offset:10880
	ds_read_b128 v[7:10], v0 offset:11968
	v_add_nc_u32_e32 v19, 0x330, v74
	v_lshlrev_b64 v[17:18], 4, v[11:12]
	ds_read_b128 v[11:14], v0 offset:13056
	v_mov_b32_e32 v20, v75
	v_add_co_u32 v15, vcc_lo, v1, v15
	v_add_co_ci_u32_e32 v16, vcc_lo, v2, v16, vcc_lo
	v_lshlrev_b64 v[19:20], 4, v[19:20]
	v_add_co_u32 v17, vcc_lo, v1, v17
	v_add_nc_u32_e32 v21, 0x374, v74
	v_mov_b32_e32 v22, v75
	v_add_co_ci_u32_e32 v18, vcc_lo, v2, v18, vcc_lo
	v_add_co_u32 v19, vcc_lo, v1, v19
	s_waitcnt lgkmcnt(2)
	global_store_dwordx4 v[15:16], v[3:6], off
	s_waitcnt lgkmcnt(1)
	global_store_dwordx4 v[17:18], v[7:10], off
	v_lshlrev_b64 v[7:8], 4, v[21:22]
	v_add_co_ci_u32_e32 v20, vcc_lo, v2, v20, vcc_lo
	v_add_nc_u32_e32 v9, 0x3b8, v74
	v_mov_b32_e32 v10, v75
	v_add_nc_u32_e32 v15, 0x3fc, v74
	s_waitcnt lgkmcnt(0)
	global_store_dwordx4 v[19:20], v[11:14], off
	v_mov_b32_e32 v16, v75
	v_add_co_u32 v19, vcc_lo, v1, v7
	ds_read_b128 v[3:6], v0 offset:14144
	v_add_co_ci_u32_e32 v20, vcc_lo, v2, v8, vcc_lo
	v_lshlrev_b64 v[21:22], 4, v[9:10]
	ds_read_b128 v[7:10], v0 offset:15232
	ds_read_b128 v[11:14], v0 offset:16320
	v_add_nc_u32_e32 v25, 0x440, v74
	v_mov_b32_e32 v26, v75
	v_lshlrev_b64 v[23:24], 4, v[15:16]
	ds_read_b128 v[15:18], v0 offset:17408
	v_add_co_u32 v21, vcc_lo, v1, v21
	v_lshlrev_b64 v[25:26], 4, v[25:26]
	v_add_co_ci_u32_e32 v22, vcc_lo, v2, v22, vcc_lo
	v_add_co_u32 v23, vcc_lo, v1, v23
	v_add_co_ci_u32_e32 v24, vcc_lo, v2, v24, vcc_lo
	v_add_co_u32 v25, vcc_lo, v1, v25
	v_add_co_ci_u32_e32 v26, vcc_lo, v2, v26, vcc_lo
	v_cmp_eq_u32_e32 vcc_lo, 0x43, v74
	s_waitcnt lgkmcnt(3)
	global_store_dwordx4 v[19:20], v[3:6], off
	s_waitcnt lgkmcnt(2)
	global_store_dwordx4 v[21:22], v[7:10], off
	;; [unrolled: 2-line block ×4, first 2 shown]
	s_and_b32 exec_lo, exec_lo, vcc_lo
	s_cbranch_execz .LBB0_29
; %bb.28:
	ds_read_b128 v[3:6], v0 offset:17424
	v_add_co_u32 v0, vcc_lo, 0x4800, v1
	v_add_co_ci_u32_e32 v1, vcc_lo, 0, v2, vcc_lo
	s_waitcnt lgkmcnt(0)
	global_store_dwordx4 v[0:1], v[3:6], off offset:64
.LBB0_29:
	s_endpgm
	.section	.rodata,"a",@progbits
	.p2align	6, 0x0
	.amdhsa_kernel fft_rtc_back_len1156_factors_17_2_17_2_wgs_204_tpt_68_halfLds_dp_op_CI_CI_unitstride_sbrr_R2C_dirReg
		.amdhsa_group_segment_fixed_size 0
		.amdhsa_private_segment_fixed_size 0
		.amdhsa_kernarg_size 104
		.amdhsa_user_sgpr_count 6
		.amdhsa_user_sgpr_private_segment_buffer 1
		.amdhsa_user_sgpr_dispatch_ptr 0
		.amdhsa_user_sgpr_queue_ptr 0
		.amdhsa_user_sgpr_kernarg_segment_ptr 1
		.amdhsa_user_sgpr_dispatch_id 0
		.amdhsa_user_sgpr_flat_scratch_init 0
		.amdhsa_user_sgpr_private_segment_size 0
		.amdhsa_wavefront_size32 1
		.amdhsa_uses_dynamic_stack 0
		.amdhsa_system_sgpr_private_segment_wavefront_offset 0
		.amdhsa_system_sgpr_workgroup_id_x 1
		.amdhsa_system_sgpr_workgroup_id_y 0
		.amdhsa_system_sgpr_workgroup_id_z 0
		.amdhsa_system_sgpr_workgroup_info 0
		.amdhsa_system_vgpr_workitem_id 0
		.amdhsa_next_free_vgpr 249
		.amdhsa_next_free_sgpr 58
		.amdhsa_reserve_vcc 1
		.amdhsa_reserve_flat_scratch 0
		.amdhsa_float_round_mode_32 0
		.amdhsa_float_round_mode_16_64 0
		.amdhsa_float_denorm_mode_32 3
		.amdhsa_float_denorm_mode_16_64 3
		.amdhsa_dx10_clamp 1
		.amdhsa_ieee_mode 1
		.amdhsa_fp16_overflow 0
		.amdhsa_workgroup_processor_mode 1
		.amdhsa_memory_ordered 1
		.amdhsa_forward_progress 0
		.amdhsa_shared_vgpr_count 0
		.amdhsa_exception_fp_ieee_invalid_op 0
		.amdhsa_exception_fp_denorm_src 0
		.amdhsa_exception_fp_ieee_div_zero 0
		.amdhsa_exception_fp_ieee_overflow 0
		.amdhsa_exception_fp_ieee_underflow 0
		.amdhsa_exception_fp_ieee_inexact 0
		.amdhsa_exception_int_div_zero 0
	.end_amdhsa_kernel
	.text
.Lfunc_end0:
	.size	fft_rtc_back_len1156_factors_17_2_17_2_wgs_204_tpt_68_halfLds_dp_op_CI_CI_unitstride_sbrr_R2C_dirReg, .Lfunc_end0-fft_rtc_back_len1156_factors_17_2_17_2_wgs_204_tpt_68_halfLds_dp_op_CI_CI_unitstride_sbrr_R2C_dirReg
                                        ; -- End function
	.section	.AMDGPU.csdata,"",@progbits
; Kernel info:
; codeLenInByte = 21484
; NumSgprs: 60
; NumVgprs: 249
; ScratchSize: 0
; MemoryBound: 0
; FloatMode: 240
; IeeeMode: 1
; LDSByteSize: 0 bytes/workgroup (compile time only)
; SGPRBlocks: 7
; VGPRBlocks: 31
; NumSGPRsForWavesPerEU: 60
; NumVGPRsForWavesPerEU: 249
; Occupancy: 4
; WaveLimiterHint : 1
; COMPUTE_PGM_RSRC2:SCRATCH_EN: 0
; COMPUTE_PGM_RSRC2:USER_SGPR: 6
; COMPUTE_PGM_RSRC2:TRAP_HANDLER: 0
; COMPUTE_PGM_RSRC2:TGID_X_EN: 1
; COMPUTE_PGM_RSRC2:TGID_Y_EN: 0
; COMPUTE_PGM_RSRC2:TGID_Z_EN: 0
; COMPUTE_PGM_RSRC2:TIDIG_COMP_CNT: 0
	.text
	.p2alignl 6, 3214868480
	.fill 48, 4, 3214868480
	.type	__hip_cuid_285a06ec14de879e,@object ; @__hip_cuid_285a06ec14de879e
	.section	.bss,"aw",@nobits
	.globl	__hip_cuid_285a06ec14de879e
__hip_cuid_285a06ec14de879e:
	.byte	0                               ; 0x0
	.size	__hip_cuid_285a06ec14de879e, 1

	.ident	"AMD clang version 19.0.0git (https://github.com/RadeonOpenCompute/llvm-project roc-6.4.0 25133 c7fe45cf4b819c5991fe208aaa96edf142730f1d)"
	.section	".note.GNU-stack","",@progbits
	.addrsig
	.addrsig_sym __hip_cuid_285a06ec14de879e
	.amdgpu_metadata
---
amdhsa.kernels:
  - .args:
      - .actual_access:  read_only
        .address_space:  global
        .offset:         0
        .size:           8
        .value_kind:     global_buffer
      - .offset:         8
        .size:           8
        .value_kind:     by_value
      - .actual_access:  read_only
        .address_space:  global
        .offset:         16
        .size:           8
        .value_kind:     global_buffer
      - .actual_access:  read_only
        .address_space:  global
        .offset:         24
        .size:           8
        .value_kind:     global_buffer
      - .actual_access:  read_only
        .address_space:  global
        .offset:         32
        .size:           8
        .value_kind:     global_buffer
      - .offset:         40
        .size:           8
        .value_kind:     by_value
      - .actual_access:  read_only
        .address_space:  global
        .offset:         48
        .size:           8
        .value_kind:     global_buffer
      - .actual_access:  read_only
        .address_space:  global
        .offset:         56
        .size:           8
        .value_kind:     global_buffer
      - .offset:         64
        .size:           4
        .value_kind:     by_value
      - .actual_access:  read_only
        .address_space:  global
        .offset:         72
        .size:           8
        .value_kind:     global_buffer
      - .actual_access:  read_only
        .address_space:  global
        .offset:         80
        .size:           8
        .value_kind:     global_buffer
      - .actual_access:  read_only
        .address_space:  global
        .offset:         88
        .size:           8
        .value_kind:     global_buffer
      - .actual_access:  write_only
        .address_space:  global
        .offset:         96
        .size:           8
        .value_kind:     global_buffer
    .group_segment_fixed_size: 0
    .kernarg_segment_align: 8
    .kernarg_segment_size: 104
    .language:       OpenCL C
    .language_version:
      - 2
      - 0
    .max_flat_workgroup_size: 204
    .name:           fft_rtc_back_len1156_factors_17_2_17_2_wgs_204_tpt_68_halfLds_dp_op_CI_CI_unitstride_sbrr_R2C_dirReg
    .private_segment_fixed_size: 0
    .sgpr_count:     60
    .sgpr_spill_count: 0
    .symbol:         fft_rtc_back_len1156_factors_17_2_17_2_wgs_204_tpt_68_halfLds_dp_op_CI_CI_unitstride_sbrr_R2C_dirReg.kd
    .uniform_work_group_size: 1
    .uses_dynamic_stack: false
    .vgpr_count:     249
    .vgpr_spill_count: 0
    .wavefront_size: 32
    .workgroup_processor_mode: 1
amdhsa.target:   amdgcn-amd-amdhsa--gfx1030
amdhsa.version:
  - 1
  - 2
...

	.end_amdgpu_metadata
